;; amdgpu-corpus repo=ROCm/rocFFT kind=compiled arch=gfx1201 opt=O3
	.text
	.amdgcn_target "amdgcn-amd-amdhsa--gfx1201"
	.amdhsa_code_object_version 6
	.protected	bluestein_single_fwd_len1485_dim1_dp_op_CI_CI ; -- Begin function bluestein_single_fwd_len1485_dim1_dp_op_CI_CI
	.globl	bluestein_single_fwd_len1485_dim1_dp_op_CI_CI
	.p2align	8
	.type	bluestein_single_fwd_len1485_dim1_dp_op_CI_CI,@function
bluestein_single_fwd_len1485_dim1_dp_op_CI_CI: ; @bluestein_single_fwd_len1485_dim1_dp_op_CI_CI
; %bb.0:
	s_load_b128 s[8:11], s[0:1], 0x28
	v_mul_u32_u24_e32 v1, 0x18e, v0
	s_mov_b32 s2, exec_lo
	v_mov_b32_e32 v250, 0
	s_delay_alu instid0(VALU_DEP_2) | instskip(NEXT) | instid1(VALU_DEP_1)
	v_lshrrev_b32_e32 v1, 16, v1
	v_add_nc_u32_e32 v249, ttmp9, v1
	s_wait_kmcnt 0x0
	s_delay_alu instid0(VALU_DEP_1)
	v_cmpx_gt_u64_e64 s[8:9], v[249:250]
	s_cbranch_execz .LBB0_18
; %bb.1:
	s_load_b128 s[4:7], s[0:1], 0x18
	v_mul_lo_u16 v1, 0xa5, v1
	s_delay_alu instid0(VALU_DEP_1) | instskip(NEXT) | instid1(VALU_DEP_1)
	v_sub_nc_u16 v40, v0, v1
	v_and_b32_e32 v243, 0xffff, v40
	s_delay_alu instid0(VALU_DEP_1)
	v_add_co_u32 v254, null, 0xa5, v243
	v_add_co_u32 v253, null, 0x14a, v243
	s_wait_kmcnt 0x0
	s_load_b128 s[12:15], s[4:5], 0x0
	v_lshlrev_b32_e32 v244, 4, v243
	s_wait_kmcnt 0x0
	v_mad_co_u64_u32 v[0:1], null, s14, v249, 0
	v_mad_co_u64_u32 v[2:3], null, s12, v243, 0
	s_mul_i32 s4, s13, 0xffffcc70
	s_mul_u64 s[2:3], s[12:13], 0x1ef0
	s_sub_co_i32 s4, s4, s12
	s_delay_alu instid0(VALU_DEP_1) | instskip(NEXT) | instid1(VALU_DEP_1)
	v_mad_co_u64_u32 v[4:5], null, s15, v249, v[1:2]
	v_mad_co_u64_u32 v[5:6], null, s13, v243, v[3:4]
	v_mov_b32_e32 v1, v4
	s_mov_b32 s13, 0xbfebb67a
	s_delay_alu instid0(VALU_DEP_1) | instskip(NEXT) | instid1(VALU_DEP_3)
	v_lshlrev_b64_e32 v[0:1], 4, v[0:1]
	v_mov_b32_e32 v3, v5
	s_delay_alu instid0(VALU_DEP_2) | instskip(NEXT) | instid1(VALU_DEP_2)
	v_add_co_u32 v0, vcc_lo, s10, v0
	v_lshlrev_b64_e32 v[2:3], 4, v[2:3]
	s_delay_alu instid0(VALU_DEP_4) | instskip(SKIP_1) | instid1(VALU_DEP_2)
	v_add_co_ci_u32_e32 v1, vcc_lo, s11, v1, vcc_lo
	s_load_b128 s[8:11], s[0:1], 0x0
	v_add_co_u32 v28, vcc_lo, v0, v2
	s_wait_alu 0xfffd
	s_delay_alu instid0(VALU_DEP_2)
	v_add_co_ci_u32_e32 v29, vcc_lo, v1, v3, vcc_lo
	s_wait_kmcnt 0x0
	s_clause 0x2
	global_load_b128 v[8:11], v244, s[8:9]
	global_load_b128 v[4:7], v244, s[8:9] offset:2640
	global_load_b128 v[0:3], v244, s[8:9] offset:10560
	v_add_co_u32 v30, vcc_lo, v28, s2
	s_wait_alu 0xfffd
	v_add_co_ci_u32_e32 v31, vcc_lo, s3, v29, vcc_lo
	s_delay_alu instid0(VALU_DEP_2) | instskip(SKIP_1) | instid1(VALU_DEP_2)
	v_add_co_u32 v32, vcc_lo, v30, s2
	s_wait_alu 0xfffd
	v_add_co_ci_u32_e32 v33, vcc_lo, s3, v31, vcc_lo
	s_delay_alu instid0(VALU_DEP_1) | instskip(NEXT) | instid1(VALU_DEP_1)
	v_mad_co_u64_u32 v[34:35], null, 0xffffcc70, s12, v[32:33]
	v_add_nc_u32_e32 v35, s4, v35
	s_delay_alu instid0(VALU_DEP_2)
	v_add_co_u32 v53, vcc_lo, v34, s2
	s_clause 0x3
	global_load_b128 v[20:23], v244, s[8:9] offset:15840
	global_load_b128 v[12:15], v244, s[8:9] offset:18480
	;; [unrolled: 1-line block ×4, first 2 shown]
	s_clause 0x2
	global_load_b128 v[36:39], v[28:29], off
	global_load_b128 v[41:44], v[30:31], off
	;; [unrolled: 1-line block ×3, first 2 shown]
	s_wait_alu 0xfffd
	v_add_co_ci_u32_e32 v54, vcc_lo, s3, v35, vcc_lo
	v_add_co_u32 v57, vcc_lo, v53, s2
	s_wait_alu 0xfffd
	s_delay_alu instid0(VALU_DEP_2)
	v_add_co_ci_u32_e32 v58, vcc_lo, s3, v54, vcc_lo
	s_clause 0x1
	global_load_b128 v[49:52], v[32:33], off
	global_load_b128 v[53:56], v[53:54], off
	v_mad_co_u64_u32 v[61:62], null, 0xffffcc70, s12, v[57:58]
	global_load_b128 v[57:60], v[57:58], off
	v_add_nc_u32_e32 v62, s4, v62
	v_add_co_u32 v32, vcc_lo, v61, s2
	s_wait_alu 0xfffd
	s_delay_alu instid0(VALU_DEP_2) | instskip(NEXT) | instid1(VALU_DEP_2)
	v_add_co_ci_u32_e32 v33, vcc_lo, s3, v62, vcc_lo
	v_add_co_u32 v69, vcc_lo, v32, s2
	s_wait_alu 0xfffd
	s_delay_alu instid0(VALU_DEP_2)
	v_add_co_ci_u32_e32 v70, vcc_lo, s3, v33, vcc_lo
	global_load_b128 v[61:64], v[61:62], off
	global_load_b128 v[28:31], v244, s[8:9] offset:13200
	global_load_b128 v[65:68], v[32:33], off
	global_load_b128 v[32:35], v244, s[8:9] offset:21120
	global_load_b128 v[69:72], v[69:70], off
	s_load_b128 s[4:7], s[6:7], 0x0
	s_mov_b32 s2, 0xe8584caa
	s_mov_b32 s3, 0x3febb67a
	s_wait_alu 0xfffe
	s_mov_b32 s12, s2
	v_cmp_gt_u16_e32 vcc_lo, 0x84, v40
	s_wait_loadcnt 0x11
	scratch_store_b128 off, v[8:11], off offset:32 ; 16-byte Folded Spill
	s_wait_loadcnt 0x10
	scratch_store_b128 off, v[4:7], off offset:16 ; 16-byte Folded Spill
	s_wait_loadcnt 0xf
	scratch_store_b128 off, v[0:3], off     ; 16-byte Folded Spill
	s_wait_loadcnt 0xe
	scratch_store_b128 off, v[20:23], off offset:80 ; 16-byte Folded Spill
	s_wait_loadcnt 0xd
	scratch_store_b128 off, v[12:15], off offset:48 ; 16-byte Folded Spill
	;; [unrolled: 2-line block ×4, first 2 shown]
	s_wait_loadcnt 0xa
	v_mul_f64_e32 v[73:74], v[38:39], v[10:11]
	v_mul_f64_e32 v[75:76], v[36:37], v[10:11]
	s_wait_loadcnt 0x8
	v_mul_f64_e32 v[85:86], v[47:48], v[6:7]
	v_mul_f64_e32 v[87:88], v[45:46], v[6:7]
	;; [unrolled: 1-line block ×4, first 2 shown]
	s_wait_loadcnt 0x7
	v_mul_f64_e32 v[81:82], v[51:52], v[22:23]
	v_mul_f64_e32 v[83:84], v[49:50], v[22:23]
	s_wait_loadcnt 0x6
	v_mul_f64_e32 v[89:90], v[55:56], v[2:3]
	v_mul_f64_e32 v[91:92], v[53:54], v[2:3]
	v_mul_u32_u24_e32 v2, 3, v253
	s_wait_loadcnt 0x5
	v_mul_f64_e32 v[93:94], v[59:60], v[14:15]
	v_mul_f64_e32 v[95:96], v[57:58], v[14:15]
	s_delay_alu instid0(VALU_DEP_3)
	v_lshlrev_b32_e32 v245, 4, v2
	s_wait_loadcnt 0x4
	v_mul_f64_e32 v[97:98], v[63:64], v[18:19]
	s_wait_loadcnt 0x3
	scratch_store_b128 off, v[28:31], off offset:112 ; 16-byte Folded Spill
	v_mul_f64_e32 v[99:100], v[61:62], v[18:19]
	s_wait_loadcnt 0x2
	v_mul_f64_e32 v[101:102], v[67:68], v[30:31]
	v_mul_f64_e32 v[103:104], v[65:66], v[30:31]
	s_wait_loadcnt 0x0
	v_mul_f64_e32 v[105:106], v[71:72], v[34:35]
	v_mul_f64_e32 v[107:108], v[69:70], v[34:35]
	v_fma_f64 v[36:37], v[36:37], v[8:9], v[73:74]
	v_fma_f64 v[38:39], v[38:39], v[8:9], -v[75:76]
	v_fma_f64 v[45:46], v[45:46], v[4:5], v[85:86]
	v_fma_f64 v[47:48], v[47:48], v[4:5], -v[87:88]
	;; [unrolled: 2-line block ×5, first 2 shown]
	v_mul_lo_u16 v0, v40, 3
	v_mul_u32_u24_e32 v1, 3, v254
	v_fma_f64 v[57:58], v[57:58], v[12:13], v[93:94]
	v_fma_f64 v[59:60], v[59:60], v[12:13], -v[95:96]
	s_delay_alu instid0(VALU_DEP_4) | instskip(NEXT) | instid1(VALU_DEP_4)
	v_and_b32_e32 v0, 0xffff, v0
	v_lshlrev_b32_e32 v251, 4, v1
	s_delay_alu instid0(VALU_DEP_2)
	v_lshlrev_b32_e32 v250, 4, v0
	v_fma_f64 v[61:62], v[61:62], v[16:17], v[97:98]
	v_fma_f64 v[63:64], v[63:64], v[16:17], -v[99:100]
	v_fma_f64 v[65:66], v[65:66], v[28:29], v[101:102]
	v_fma_f64 v[67:68], v[67:68], v[28:29], -v[103:104]
	;; [unrolled: 2-line block ×3, first 2 shown]
                                        ; implicit-def: $vgpr104_vgpr105
	ds_store_b128 v244, v[36:39]
	ds_store_b128 v244, v[45:48] offset:2640
	ds_store_b128 v244, v[49:52] offset:15840
	;; [unrolled: 1-line block ×8, first 2 shown]
	global_wb scope:SCOPE_SE
	s_wait_storecnt_dscnt 0x0
	s_wait_kmcnt 0x0
	s_barrier_signal -1
	s_barrier_wait -1
	global_inv scope:SCOPE_SE
	ds_load_b128 v[36:39], v244 offset:7920
	ds_load_b128 v[41:44], v244 offset:15840
	ds_load_b128 v[45:48], v244 offset:18480
	ds_load_b128 v[49:52], v244 offset:10560
	ds_load_b128 v[53:56], v244 offset:13200
	ds_load_b128 v[57:60], v244 offset:21120
	ds_load_b128 v[61:64], v244 offset:5280
	ds_load_b128 v[65:68], v244
	ds_load_b128 v[69:72], v244 offset:2640
	global_wb scope:SCOPE_SE
	s_wait_dscnt 0x0
	s_barrier_signal -1
	s_barrier_wait -1
	global_inv scope:SCOPE_SE
	v_add_f64_e32 v[73:74], v[36:37], v[41:42]
	v_add_f64_e32 v[75:76], v[38:39], v[43:44]
	;; [unrolled: 1-line block ×7, first 2 shown]
	v_add_f64_e64 v[87:88], v[38:39], -v[43:44]
	v_add_f64_e32 v[38:39], v[67:68], v[38:39]
	v_add_f64_e64 v[36:37], v[36:37], -v[41:42]
	v_add_f64_e32 v[89:90], v[69:70], v[49:50]
	v_add_f64_e32 v[91:92], v[71:72], v[51:52]
	;; [unrolled: 1-line block ×4, first 2 shown]
	v_add_f64_e64 v[97:98], v[49:50], -v[45:46]
	v_add_f64_e64 v[99:100], v[55:56], -v[59:60]
	;; [unrolled: 1-line block ×3, first 2 shown]
	v_fma_f64 v[65:66], v[73:74], -0.5, v[65:66]
	v_fma_f64 v[67:68], v[75:76], -0.5, v[67:68]
	v_add_f64_e64 v[73:74], v[51:52], -v[47:48]
	v_fma_f64 v[69:70], v[77:78], -0.5, v[69:70]
	v_fma_f64 v[71:72], v[79:80], -0.5, v[71:72]
	;; [unrolled: 1-line block ×4, first 2 shown]
	v_add_f64_e32 v[41:42], v[85:86], v[41:42]
	v_add_f64_e32 v[43:44], v[38:39], v[43:44]
	;; [unrolled: 1-line block ×6, first 2 shown]
	v_fma_f64 v[49:50], v[87:88], s[2:3], v[65:66]
	s_wait_alu 0xfffe
	v_fma_f64 v[51:52], v[36:37], s[12:13], v[67:68]
	v_fma_f64 v[53:54], v[87:88], s[12:13], v[65:66]
	;; [unrolled: 1-line block ×11, first 2 shown]
	ds_store_b128 v250, v[41:44]
	ds_store_b128 v250, v[49:52] offset:16
	ds_store_b128 v250, v[53:56] offset:32
	ds_store_b128 v251, v[45:48]
	ds_store_b128 v251, v[57:60] offset:16
	ds_store_b128 v251, v[36:39] offset:32
	;; [unrolled: 3-line block ×3, first 2 shown]
	global_wb scope:SCOPE_SE
	s_wait_dscnt 0x0
	s_barrier_signal -1
	s_barrier_wait -1
	global_inv scope:SCOPE_SE
	ds_load_b128 v[72:75], v244
	ds_load_b128 v[100:103], v244 offset:4752
	ds_load_b128 v[88:91], v244 offset:9504
	;; [unrolled: 1-line block ×4, first 2 shown]
	s_load_b64 s[2:3], s[0:1], 0x38
	s_and_saveexec_b32 s0, vcc_lo
	s_cbranch_execz .LBB0_3
; %bb.2:
	ds_load_b128 v[36:39], v244 offset:2640
	ds_load_b128 v[76:79], v244 offset:7392
	;; [unrolled: 1-line block ×5, first 2 shown]
.LBB0_3:
	s_wait_alu 0xfffe
	s_or_b32 exec_lo, exec_lo, s0
	v_and_b32_e32 v0, 0xffff, v254
	v_and_b32_e32 v124, 0xff, v243
	s_mov_b32 s0, 0x134454ff
	s_mov_b32 s1, 0x3fee6f0e
	;; [unrolled: 1-line block ×3, first 2 shown]
	v_mul_u32_u24_e32 v0, 0xaaab, v0
	v_mul_lo_u16 v1, 0xab, v124
	s_wait_alu 0xfffe
	s_mov_b32 s12, s0
	s_delay_alu instid0(VALU_DEP_2) | instskip(NEXT) | instid1(VALU_DEP_2)
	v_lshrrev_b32_e32 v255, 17, v0
	v_lshrrev_b16 v1, 9, v1
	s_delay_alu instid0(VALU_DEP_2) | instskip(NEXT) | instid1(VALU_DEP_2)
	v_mul_lo_u16 v2, v255, 3
	v_mul_lo_u16 v0, v1, 3
	v_and_b32_e32 v1, 0xffff, v1
	s_delay_alu instid0(VALU_DEP_3) | instskip(NEXT) | instid1(VALU_DEP_3)
	v_sub_nc_u16 v24, v254, v2
	v_sub_nc_u16 v0, v243, v0
	s_delay_alu instid0(VALU_DEP_3) | instskip(NEXT) | instid1(VALU_DEP_3)
	v_mul_u32_u24_e32 v1, 15, v1
	v_lshlrev_b16 v2, 2, v24
	s_delay_alu instid0(VALU_DEP_3) | instskip(NEXT) | instid1(VALU_DEP_2)
	v_and_b32_e32 v0, 0xff, v0
	v_and_b32_e32 v2, 0xffff, v2
	s_delay_alu instid0(VALU_DEP_2)
	v_lshlrev_b32_e32 v3, 6, v0
	v_add_lshl_u32 v252, v1, v0, 4
	s_clause 0x2
	global_load_b128 v[52:55], v3, s[10:11]
	global_load_b128 v[44:47], v3, s[10:11] offset:16
	global_load_b128 v[40:43], v3, s[10:11] offset:32
	v_lshlrev_b32_e32 v2, 4, v2
	s_clause 0x4
	global_load_b128 v[48:51], v3, s[10:11] offset:48
	global_load_b128 v[68:71], v2, s[10:11]
	global_load_b128 v[64:67], v2, s[10:11] offset:16
	global_load_b128 v[60:63], v2, s[10:11] offset:32
	;; [unrolled: 1-line block ×3, first 2 shown]
	global_wb scope:SCOPE_SE
	s_wait_loadcnt_dscnt 0x0
	s_wait_kmcnt 0x0
	s_barrier_signal -1
	s_barrier_wait -1
	global_inv scope:SCOPE_SE
	v_mul_f64_e32 v[108:109], v[102:103], v[54:55]
	v_mul_f64_e32 v[110:111], v[90:91], v[46:47]
	;; [unrolled: 1-line block ×16, first 2 shown]
	v_fma_f64 v[100:101], v[100:101], v[52:53], -v[108:109]
	v_fma_f64 v[88:89], v[88:89], v[44:45], -v[110:111]
	;; [unrolled: 1-line block ×3, first 2 shown]
	v_fma_f64 v[102:103], v[102:103], v[52:53], v[114:115]
	v_fma_f64 v[96:97], v[96:97], v[48:49], -v[116:117]
	v_fma_f64 v[90:91], v[90:91], v[44:45], v[118:119]
	v_fma_f64 v[94:95], v[94:95], v[40:41], v[120:121]
	;; [unrolled: 1-line block ×3, first 2 shown]
	v_fma_f64 v[76:77], v[76:77], v[68:69], -v[125:126]
	v_fma_f64 v[80:81], v[80:81], v[64:65], -v[127:128]
	;; [unrolled: 1-line block ×3, first 2 shown]
	v_fma_f64 v[78:79], v[78:79], v[68:69], v[131:132]
	v_fma_f64 v[104:105], v[104:105], v[56:57], -v[133:134]
	v_fma_f64 v[82:83], v[82:83], v[64:65], v[135:136]
	v_fma_f64 v[86:87], v[86:87], v[60:61], v[137:138]
	;; [unrolled: 1-line block ×3, first 2 shown]
	v_add_f64_e32 v[125:126], v[72:73], v[100:101]
	v_add_f64_e32 v[108:109], v[88:89], v[92:93]
	;; [unrolled: 1-line block ×4, first 2 shown]
	v_add_f64_e64 v[137:138], v[100:101], -v[96:97]
	v_add_f64_e32 v[112:113], v[90:91], v[94:95]
	v_add_f64_e32 v[114:115], v[102:103], v[98:99]
	v_add_f64_e64 v[127:128], v[102:103], -v[98:99]
	v_add_f64_e64 v[129:130], v[90:91], -v[94:95]
	v_add_f64_e32 v[116:117], v[80:81], v[84:85]
	v_add_f64_e32 v[133:134], v[36:37], v[76:77]
	v_add_f64_e32 v[118:119], v[76:77], v[104:105]
	v_add_f64_e32 v[135:136], v[38:39], v[78:79]
	v_add_f64_e32 v[120:121], v[82:83], v[86:87]
	v_add_f64_e32 v[122:123], v[78:79], v[106:107]
	v_add_f64_e64 v[139:140], v[78:79], -v[106:107]
	v_add_f64_e64 v[141:142], v[76:77], -v[104:105]
	;; [unrolled: 1-line block ×16, first 2 shown]
	v_fma_f64 v[108:109], v[108:109], -0.5, v[72:73]
	v_add_f64_e32 v[90:91], v[131:132], v[90:91]
	v_fma_f64 v[72:73], v[110:111], -0.5, v[72:73]
	v_add_f64_e64 v[110:111], v[88:89], -v[92:93]
	v_fma_f64 v[112:113], v[112:113], -0.5, v[74:75]
	v_fma_f64 v[74:75], v[114:115], -0.5, v[74:75]
	v_add_f64_e64 v[114:115], v[82:83], -v[86:87]
	v_fma_f64 v[116:117], v[116:117], -0.5, v[36:37]
	;; [unrolled: 3-line block ×3, first 2 shown]
	v_fma_f64 v[38:39], v[122:123], -0.5, v[38:39]
	v_add_f64_e64 v[122:123], v[100:101], -v[88:89]
	v_add_f64_e64 v[100:101], v[88:89], -v[100:101]
	v_add_f64_e32 v[88:89], v[125:126], v[88:89]
	v_add_f64_e32 v[80:81], v[133:134], v[80:81]
	v_add_f64_e32 v[82:83], v[135:136], v[82:83]
	v_add_f64_e32 v[76:77], v[76:77], v[157:158]
	v_add_f64_e32 v[78:79], v[78:79], v[163:164]
	v_fma_f64 v[125:126], v[127:128], s[0:1], v[108:109]
	s_wait_alu 0xfffe
	v_fma_f64 v[108:109], v[127:128], s[12:13], v[108:109]
	v_fma_f64 v[131:132], v[129:130], s[12:13], v[72:73]
	;; [unrolled: 1-line block ×15, first 2 shown]
	s_mov_b32 s0, 0x4755a5e
	s_mov_b32 s1, 0x3fe2cf23
	;; [unrolled: 1-line block ×3, first 2 shown]
	s_wait_alu 0xfffe
	s_mov_b32 s12, s0
	v_add_f64_e32 v[122:123], v[122:123], v[143:144]
	v_add_f64_e32 v[143:144], v[100:101], v[145:146]
	;; [unrolled: 1-line block ×10, first 2 shown]
	v_fma_f64 v[84:85], v[129:130], s[0:1], v[125:126]
	s_wait_alu 0xfffe
	v_fma_f64 v[86:87], v[129:130], s[12:13], v[108:109]
	v_fma_f64 v[92:93], v[127:128], s[0:1], v[131:132]
	;; [unrolled: 1-line block ×15, first 2 shown]
	s_mov_b32 s0, 0x372fe950
	s_mov_b32 s1, 0x3fd3c6ef
	v_add_f64_e32 v[108:109], v[88:89], v[96:97]
	v_add_f64_e32 v[110:111], v[90:91], v[98:99]
	;; [unrolled: 1-line block ×4, first 2 shown]
	s_wait_alu 0xfffe
	v_fma_f64 v[72:73], v[122:123], s[0:1], v[84:85]
	v_fma_f64 v[100:101], v[122:123], s[0:1], v[86:87]
	;; [unrolled: 1-line block ×16, first 2 shown]
	ds_store_b128 v252, v[108:111]
	ds_store_b128 v252, v[72:75] offset:48
	ds_store_b128 v252, v[84:87] offset:96
	;; [unrolled: 1-line block ×4, first 2 shown]
	s_and_saveexec_b32 s0, vcc_lo
	s_cbranch_execz .LBB0_5
; %bb.4:
	v_mad_u16 v0, v255, 15, v24
	s_delay_alu instid0(VALU_DEP_1) | instskip(NEXT) | instid1(VALU_DEP_1)
	v_and_b32_e32 v0, 0xffff, v0
	v_lshlrev_b32_e32 v0, 4, v0
	ds_store_b128 v0, v[112:115]
	ds_store_b128 v0, v[116:119] offset:48
	ds_store_b128 v0, v[104:107] offset:96
	;; [unrolled: 1-line block ×4, first 2 shown]
.LBB0_5:
	s_wait_alu 0xfffe
	s_or_b32 exec_lo, exec_lo, s0
	v_add_co_u32 v156, s0, s8, v244
	s_wait_alu 0xf1ff
	v_add_co_ci_u32_e64 v157, null, s9, 0, s0
	v_cmp_gt_u16_e64 s0, 0x87, v243
	global_wb scope:SCOPE_SE
	s_wait_dscnt 0x0
	s_barrier_signal -1
	s_barrier_wait -1
	global_inv scope:SCOPE_SE
                                        ; implicit-def: $vgpr96_vgpr97
	s_and_saveexec_b32 s1, s0
	s_cbranch_execz .LBB0_7
; %bb.6:
	ds_load_b128 v[108:111], v244
	ds_load_b128 v[72:75], v244 offset:2160
	ds_load_b128 v[84:87], v244 offset:4320
	;; [unrolled: 1-line block ×10, first 2 shown]
.LBB0_7:
	s_wait_alu 0xfffe
	s_or_b32 exec_lo, exec_lo, s1
	v_mul_lo_u16 v0, 0x89, v124
	s_mov_b32 s18, 0xf8bb580b
	s_mov_b32 s19, 0xbfe14ced
	;; [unrolled: 1-line block ×4, first 2 shown]
	v_lshrrev_b16 v246, 11, v0
	s_mov_b32 s16, 0x8eee2c13
	s_mov_b32 s17, 0xbfed1bb4
	;; [unrolled: 1-line block ×4, first 2 shown]
	v_mul_lo_u16 v0, v246, 15
	s_mov_b32 s24, 0x43842ef
	s_mov_b32 s25, 0xbfefac9e
	;; [unrolled: 1-line block ×4, first 2 shown]
	v_sub_nc_u16 v0, v243, v0
	s_mov_b32 s34, 0xbb3a28a1
	s_mov_b32 s35, 0xbfe82f19
	s_mov_b32 s22, 0x7f775887
	s_mov_b32 s23, 0xbfe4f49e
	v_and_b32_e32 v25, 0xff, v0
	s_mov_b32 s30, 0xfd768dbf
	s_mov_b32 s31, 0x3fd207e7
	;; [unrolled: 1-line block ×4, first 2 shown]
	v_mad_co_u64_u32 v[152:153], null, 0xa0, v25, s[10:11]
	s_mov_b32 s26, 0x9bcd5057
	s_mov_b32 s27, 0xbfeeb42a
	s_mov_b32 s39, 0x3fefac9e
	s_mov_b32 s38, s24
	s_mov_b32 s37, 0x3fe14ced
	s_mov_b32 s36, s18
	s_clause 0x1
	global_load_b128 v[36:39], v[152:153], off offset:192
	global_load_b128 v[76:79], v[152:153], off offset:208
	v_and_b32_e32 v26, 0xffff, v246
	s_wait_loadcnt_dscnt 0x109
	v_mul_f64_e32 v[80:81], v[72:73], v[38:39]
	s_delay_alu instid0(VALU_DEP_1) | instskip(SKIP_1) | instid1(VALU_DEP_1)
	v_fma_f64 v[174:175], v[74:75], v[36:37], v[80:81]
	v_mul_f64_e32 v[74:75], v[74:75], v[38:39]
	v_fma_f64 v[176:177], v[72:73], v[36:37], -v[74:75]
	s_clause 0x1
	global_load_b128 v[72:75], v[152:153], off offset:336
	global_load_b128 v[80:83], v[152:153], off offset:320
	s_wait_loadcnt_dscnt 0x100
	v_mul_f64_e32 v[124:125], v[96:97], v[74:75]
	s_delay_alu instid0(VALU_DEP_1) | instskip(SKIP_1) | instid1(VALU_DEP_2)
	v_fma_f64 v[124:125], v[98:99], v[72:73], v[124:125]
	v_mul_f64_e32 v[98:99], v[98:99], v[74:75]
	v_add_f64_e64 v[231:232], v[174:175], -v[124:125]
	s_delay_alu instid0(VALU_DEP_2) | instskip(SKIP_2) | instid1(VALU_DEP_4)
	v_fma_f64 v[126:127], v[96:97], v[72:73], -v[98:99]
	v_mul_f64_e32 v[96:97], v[86:87], v[78:79]
	v_add_f64_e32 v[235:236], v[174:175], v[124:125]
	v_mul_f64_e32 v[227:228], s[18:19], v[231:232]
	s_delay_alu instid0(VALU_DEP_4) | instskip(NEXT) | instid1(VALU_DEP_4)
	v_add_f64_e32 v[229:230], v[176:177], v[126:127]
	v_fma_f64 v[132:133], v[84:85], v[76:77], -v[96:97]
	v_mul_f64_e32 v[84:85], v[84:85], v[78:79]
	v_add_f64_e64 v[237:238], v[176:177], -v[126:127]
	v_mul_f64_e32 v[239:240], s[16:17], v[231:232]
	s_delay_alu instid0(VALU_DEP_3) | instskip(SKIP_2) | instid1(VALU_DEP_4)
	v_fma_f64 v[134:135], v[86:87], v[76:77], v[84:85]
	s_wait_loadcnt 0x0
	v_mul_f64_e32 v[84:85], v[92:93], v[82:83]
	v_mul_f64_e32 v[233:234], s[18:19], v[237:238]
	;; [unrolled: 1-line block ×3, first 2 shown]
	s_delay_alu instid0(VALU_DEP_3) | instskip(SKIP_1) | instid1(VALU_DEP_2)
	v_fma_f64 v[128:129], v[94:95], v[80:81], v[84:85]
	v_mul_f64_e32 v[84:85], v[94:95], v[82:83]
	v_add_f64_e64 v[170:171], v[134:135], -v[128:129]
	s_delay_alu instid0(VALU_DEP_2)
	v_fma_f64 v[130:131], v[92:93], v[80:81], -v[84:85]
	s_clause 0x1
	global_load_b128 v[84:87], v[152:153], off offset:224
	global_load_b128 v[92:95], v[152:153], off offset:240
	v_add_f64_e32 v[162:163], v[134:135], v[128:129]
	v_mul_f64_e32 v[160:161], s[16:17], v[170:171]
	v_add_f64_e64 v[172:173], v[132:133], -v[130:131]
	v_mul_f64_e32 v[211:212], s[34:35], v[170:171]
	s_delay_alu instid0(VALU_DEP_2) | instskip(SKIP_1) | instid1(VALU_DEP_1)
	v_mul_f64_e32 v[164:165], s[16:17], v[172:173]
	v_mul_f64_e32 v[215:216], s[34:35], v[172:173]
	v_fma_f64 v[213:214], v[162:163], s[22:23], -v[215:216]
	s_wait_loadcnt 0x1
	v_mul_f64_e32 v[96:97], v[90:91], v[86:87]
	s_delay_alu instid0(VALU_DEP_1) | instskip(SKIP_1) | instid1(VALU_DEP_1)
	v_fma_f64 v[136:137], v[88:89], v[84:85], -v[96:97]
	v_mul_f64_e32 v[88:89], v[88:89], v[86:87]
	v_fma_f64 v[138:139], v[90:91], v[84:85], v[88:89]
	s_clause 0x1
	global_load_b128 v[88:91], v[152:153], off offset:304
	global_load_b128 v[96:99], v[152:153], off offset:288
	s_wait_loadcnt 0x1
	v_mul_f64_e32 v[140:141], v[122:123], v[90:91]
	s_delay_alu instid0(VALU_DEP_1) | instskip(SKIP_1) | instid1(VALU_DEP_2)
	v_fma_f64 v[140:141], v[120:121], v[88:89], -v[140:141]
	v_mul_f64_e32 v[120:121], v[120:121], v[90:91]
	v_add_f64_e32 v[166:167], v[136:137], v[140:141]
	s_delay_alu instid0(VALU_DEP_2) | instskip(SKIP_2) | instid1(VALU_DEP_3)
	v_fma_f64 v[142:143], v[122:123], v[88:89], v[120:121]
	v_mul_f64_e32 v[120:121], v[102:103], v[94:95]
	v_add_f64_e64 v[195:196], v[136:137], -v[140:141]
	v_add_f64_e64 v[197:198], v[138:139], -v[142:143]
	s_delay_alu instid0(VALU_DEP_3)
	v_fma_f64 v[146:147], v[100:101], v[92:93], -v[120:121]
	v_mul_f64_e32 v[100:101], v[100:101], v[94:95]
	v_add_f64_e32 v[178:179], v[138:139], v[142:143]
	v_mul_f64_e32 v[180:181], s[24:25], v[195:196]
	v_mul_f64_e32 v[221:222], s[30:31], v[195:196]
	;; [unrolled: 1-line block ×3, first 2 shown]
	v_fma_f64 v[150:151], v[102:103], v[92:93], v[100:101]
	s_wait_loadcnt 0x0
	v_mul_f64_e32 v[100:101], v[106:107], v[98:99]
	s_delay_alu instid0(VALU_DEP_1) | instskip(SKIP_1) | instid1(VALU_DEP_2)
	v_fma_f64 v[144:145], v[104:105], v[96:97], -v[100:101]
	v_mul_f64_e32 v[100:101], v[104:105], v[98:99]
	v_add_f64_e32 v[182:183], v[146:147], v[144:145]
	s_delay_alu instid0(VALU_DEP_2)
	v_fma_f64 v[148:149], v[106:107], v[96:97], v[100:101]
	s_clause 0x1
	global_load_b128 v[100:103], v[152:153], off offset:256
	global_load_b128 v[104:107], v[152:153], off offset:272
	s_wait_alu 0xfffe
	v_fma_f64 v[152:153], v[162:163], s[12:13], -v[164:165]
	v_add_f64_e64 v[203:204], v[146:147], -v[144:145]
	global_wb scope:SCOPE_SE
	s_wait_loadcnt 0x0
	s_barrier_signal -1
	s_barrier_wait -1
	global_inv scope:SCOPE_SE
	v_add_f64_e64 v[205:206], v[150:151], -v[148:149]
	v_add_f64_e32 v[186:187], v[150:151], v[148:149]
	v_mul_f64_e32 v[188:189], s[34:35], v[203:204]
	v_mul_f64_e32 v[223:224], s[38:39], v[203:204]
	s_delay_alu instid0(VALU_DEP_4) | instskip(SKIP_1) | instid1(VALU_DEP_1)
	v_mul_f64_e32 v[184:185], s[34:35], v[205:206]
	v_mul_f64_e32 v[120:121], v[114:115], v[102:103]
	v_fma_f64 v[158:159], v[112:113], v[100:101], -v[120:121]
	v_mul_f64_e32 v[112:113], v[112:113], v[102:103]
	s_delay_alu instid0(VALU_DEP_1) | instskip(SKIP_1) | instid1(VALU_DEP_1)
	v_fma_f64 v[114:115], v[114:115], v[100:101], v[112:113]
	v_mul_f64_e32 v[112:113], v[118:119], v[106:107]
	v_fma_f64 v[112:113], v[116:117], v[104:105], -v[112:113]
	v_mul_f64_e32 v[116:117], v[116:117], v[106:107]
	s_delay_alu instid0(VALU_DEP_2) | instskip(NEXT) | instid1(VALU_DEP_2)
	v_add_f64_e32 v[190:191], v[158:159], v[112:113]
	v_fma_f64 v[116:117], v[118:119], v[104:105], v[116:117]
	v_fma_f64 v[118:119], v[229:230], s[14:15], v[227:228]
	v_add_f64_e64 v[207:208], v[158:159], -v[112:113]
	s_delay_alu instid0(VALU_DEP_3) | instskip(NEXT) | instid1(VALU_DEP_3)
	v_add_f64_e64 v[209:210], v[114:115], -v[116:117]
	v_add_f64_e32 v[120:121], v[108:109], v[118:119]
	v_add_f64_e32 v[118:119], v[132:133], v[130:131]
	;; [unrolled: 1-line block ×3, first 2 shown]
	v_mul_f64_e32 v[201:202], s[28:29], v[207:208]
	v_mul_f64_e32 v[193:194], s[28:29], v[209:210]
	s_delay_alu instid0(VALU_DEP_4) | instskip(SKIP_1) | instid1(VALU_DEP_2)
	v_fma_f64 v[122:123], v[118:119], s[12:13], v[160:161]
	v_fma_f64 v[154:155], v[118:119], s[22:23], v[211:212]
	v_add_f64_e32 v[120:121], v[122:123], v[120:121]
	v_fma_f64 v[122:123], v[235:236], s[14:15], -v[233:234]
	s_delay_alu instid0(VALU_DEP_1) | instskip(NEXT) | instid1(VALU_DEP_1)
	v_add_f64_e32 v[122:123], v[110:111], v[122:123]
	v_add_f64_e32 v[122:123], v[152:153], v[122:123]
	v_fma_f64 v[152:153], v[166:167], s[20:21], v[168:169]
	s_delay_alu instid0(VALU_DEP_1) | instskip(SKIP_1) | instid1(VALU_DEP_1)
	v_add_f64_e32 v[120:121], v[152:153], v[120:121]
	v_fma_f64 v[152:153], v[178:179], s[20:21], -v[180:181]
	v_add_f64_e32 v[122:123], v[152:153], v[122:123]
	v_fma_f64 v[152:153], v[182:183], s[22:23], v[184:185]
	s_delay_alu instid0(VALU_DEP_1) | instskip(SKIP_1) | instid1(VALU_DEP_1)
	v_add_f64_e32 v[120:121], v[152:153], v[120:121]
	v_fma_f64 v[152:153], v[186:187], s[22:23], -v[188:189]
	v_add_f64_e32 v[122:123], v[152:153], v[122:123]
	v_fma_f64 v[152:153], v[190:191], s[26:27], v[193:194]
	s_delay_alu instid0(VALU_DEP_1) | instskip(SKIP_1) | instid1(VALU_DEP_1)
	v_add_f64_e32 v[120:121], v[152:153], v[120:121]
	v_fma_f64 v[152:153], v[199:200], s[26:27], -v[201:202]
	v_add_f64_e32 v[122:123], v[152:153], v[122:123]
	v_fma_f64 v[152:153], v[229:230], s[12:13], v[239:240]
	s_delay_alu instid0(VALU_DEP_1) | instskip(NEXT) | instid1(VALU_DEP_1)
	v_add_f64_e32 v[152:153], v[108:109], v[152:153]
	v_add_f64_e32 v[152:153], v[154:155], v[152:153]
	v_fma_f64 v[154:155], v[235:236], s[12:13], -v[241:242]
	s_delay_alu instid0(VALU_DEP_1) | instskip(NEXT) | instid1(VALU_DEP_1)
	v_add_f64_e32 v[154:155], v[110:111], v[154:155]
	v_add_f64_e32 v[154:155], v[213:214], v[154:155]
	v_mul_f64_e32 v[213:214], s[30:31], v[197:198]
	s_delay_alu instid0(VALU_DEP_1) | instskip(NEXT) | instid1(VALU_DEP_1)
	v_fma_f64 v[217:218], v[166:167], s[26:27], v[213:214]
	v_add_f64_e32 v[152:153], v[217:218], v[152:153]
	v_fma_f64 v[217:218], v[178:179], s[26:27], -v[221:222]
	s_delay_alu instid0(VALU_DEP_1) | instskip(SKIP_1) | instid1(VALU_DEP_1)
	v_add_f64_e32 v[154:155], v[217:218], v[154:155]
	v_mul_f64_e32 v[217:218], s[38:39], v[205:206]
	v_fma_f64 v[219:220], v[182:183], s[20:21], v[217:218]
	s_delay_alu instid0(VALU_DEP_1) | instskip(SKIP_1) | instid1(VALU_DEP_1)
	v_add_f64_e32 v[152:153], v[219:220], v[152:153]
	v_fma_f64 v[219:220], v[186:187], s[20:21], -v[223:224]
	v_add_f64_e32 v[154:155], v[219:220], v[154:155]
	v_mul_f64_e32 v[219:220], s[36:37], v[209:210]
	s_delay_alu instid0(VALU_DEP_1) | instskip(NEXT) | instid1(VALU_DEP_1)
	v_fma_f64 v[225:226], v[190:191], s[14:15], v[219:220]
	v_add_f64_e32 v[152:153], v[225:226], v[152:153]
	v_mul_f64_e32 v[225:226], s[36:37], v[207:208]
	s_delay_alu instid0(VALU_DEP_1) | instskip(NEXT) | instid1(VALU_DEP_1)
	v_fma_f64 v[247:248], v[199:200], s[14:15], -v[225:226]
	v_add_f64_e32 v[154:155], v[247:248], v[154:155]
	s_and_saveexec_b32 s1, s0
	s_cbranch_execz .LBB0_9
; %bb.8:
	v_mul_f64_e32 v[247:248], s[12:13], v[235:236]
	v_dual_mov_b32 v192, v245 :: v_dual_mov_b32 v27, v25
	v_dual_mov_b32 v25, v26 :: v_dual_mov_b32 v26, v24
	v_mov_b32_e32 v24, v249
	v_dual_mov_b32 v28, v243 :: v_dual_mov_b32 v243, v250
	v_mul_f64_e32 v[249:250], s[22:23], v[235:236]
	s_mov_b32 s41, 0x3fe82f19
	s_mov_b32 s40, s34
	v_add_f64_e32 v[12:13], v[108:109], v[176:177]
	v_mul_f64_e32 v[16:17], s[12:13], v[186:187]
	s_mov_b32 s43, 0x3fed1bb4
	s_mov_b32 s42, s16
	v_mul_f64_e32 v[20:21], s[20:21], v[199:200]
	v_add_f64_e32 v[241:242], v[241:242], v[247:248]
	v_mul_f64_e32 v[247:248], s[12:13], v[229:230]
	v_fma_f64 v[0:1], v[237:238], s[40:41], v[249:250]
	v_fma_f64 v[2:3], v[237:238], s[34:35], v[249:250]
	v_mul_f64_e32 v[249:250], s[20:21], v[235:236]
	v_fma_f64 v[18:19], v[203:204], s[16:17], v[16:17]
	v_fma_f64 v[16:17], v[203:204], s[42:43], v[16:17]
	;; [unrolled: 1-line block ×4, first 2 shown]
	v_add_f64_e32 v[241:242], v[110:111], v[241:242]
	v_add_f64_e64 v[239:240], v[247:248], -v[239:240]
	v_mul_f64_e32 v[247:248], s[26:27], v[235:236]
	v_mul_f64_e32 v[235:236], s[14:15], v[235:236]
	v_add_f64_e32 v[0:1], v[110:111], v[0:1]
	v_add_f64_e32 v[2:3], v[110:111], v[2:3]
	v_fma_f64 v[4:5], v[237:238], s[24:25], v[249:250]
	v_fma_f64 v[6:7], v[237:238], s[38:39], v[249:250]
	v_add_f64_e32 v[239:240], v[108:109], v[239:240]
	v_fma_f64 v[245:246], v[237:238], s[30:31], v[247:248]
	v_fma_f64 v[247:248], v[237:238], s[28:29], v[247:248]
	v_add_f64_e32 v[233:234], v[233:234], v[235:236]
	v_mul_f64_e32 v[235:236], s[28:29], v[231:232]
	v_mul_f64_e32 v[237:238], s[34:35], v[231:232]
	;; [unrolled: 1-line block ×3, first 2 shown]
	v_add_f64_e32 v[4:5], v[110:111], v[4:5]
	v_add_f64_e32 v[6:7], v[110:111], v[6:7]
	v_add_f64_e32 v[14:15], v[110:111], v[245:246]
	v_mul_f64_e32 v[245:246], s[14:15], v[162:163]
	v_add_f64_e32 v[176:177], v[110:111], v[247:248]
	v_fma_f64 v[249:250], v[229:230], s[26:27], v[235:236]
	v_fma_f64 v[235:236], v[229:230], s[26:27], -v[235:236]
	v_fma_f64 v[8:9], v[229:230], s[22:23], -v[237:238]
	v_fma_f64 v[10:11], v[229:230], s[22:23], v[237:238]
	v_fma_f64 v[237:238], v[229:230], s[20:21], -v[231:232]
	v_fma_f64 v[231:232], v[229:230], s[20:21], v[231:232]
	v_mul_f64_e32 v[229:230], s[14:15], v[229:230]
	v_mul_f64_e32 v[247:248], s[36:37], v[170:171]
	v_add_f64_e32 v[233:234], v[110:111], v[233:234]
	v_add_f64_e32 v[235:236], v[108:109], v[235:236]
	;; [unrolled: 1-line block ×6, first 2 shown]
	v_add_f64_e64 v[227:228], v[229:230], -v[227:228]
	v_add_f64_e32 v[229:230], v[110:111], v[174:175]
	v_add_f64_e32 v[174:175], v[108:109], v[249:250]
	v_mul_f64_e32 v[249:250], s[34:35], v[197:198]
	s_delay_alu instid0(VALU_DEP_4) | instskip(SKIP_1) | instid1(VALU_DEP_1)
	v_add_f64_e32 v[227:228], v[108:109], v[227:228]
	v_fma_f64 v[108:109], v[172:173], s[18:19], v[245:246]
	v_add_f64_e32 v[14:15], v[108:109], v[14:15]
	v_fma_f64 v[108:109], v[118:119], s[14:15], v[247:248]
	s_delay_alu instid0(VALU_DEP_1) | instskip(SKIP_1) | instid1(VALU_DEP_1)
	v_add_f64_e32 v[108:109], v[108:109], v[174:175]
	v_mul_f64_e32 v[174:175], s[22:23], v[178:179]
	v_fma_f64 v[110:111], v[195:196], s[40:41], v[174:175]
	v_fma_f64 v[174:175], v[195:196], s[34:35], v[174:175]
	s_delay_alu instid0(VALU_DEP_2) | instskip(SKIP_1) | instid1(VALU_DEP_2)
	v_add_f64_e32 v[14:15], v[110:111], v[14:15]
	v_fma_f64 v[110:111], v[166:167], s[22:23], v[249:250]
	v_add_f64_e32 v[14:15], v[18:19], v[14:15]
	v_mul_f64_e32 v[18:19], s[42:43], v[205:206]
	s_delay_alu instid0(VALU_DEP_3) | instskip(NEXT) | instid1(VALU_DEP_2)
	v_add_f64_e32 v[108:109], v[110:111], v[108:109]
	v_fma_f64 v[110:111], v[182:183], s[12:13], v[18:19]
	v_fma_f64 v[18:19], v[182:183], s[12:13], -v[18:19]
	s_delay_alu instid0(VALU_DEP_2) | instskip(SKIP_2) | instid1(VALU_DEP_1)
	v_add_f64_e32 v[108:109], v[110:111], v[108:109]
	v_add_f64_e32 v[110:111], v[22:23], v[14:15]
	v_mul_f64_e32 v[14:15], s[24:25], v[209:210]
	v_fma_f64 v[22:23], v[190:191], s[20:21], v[14:15]
	v_fma_f64 v[14:15], v[190:191], s[20:21], -v[14:15]
	s_delay_alu instid0(VALU_DEP_2) | instskip(SKIP_2) | instid1(VALU_DEP_2)
	v_add_f64_e32 v[108:109], v[22:23], v[108:109]
	v_fma_f64 v[22:23], v[172:173], s[36:37], v[245:246]
	v_mov_b32_e32 v245, v192
	v_add_f64_e32 v[22:23], v[22:23], v[176:177]
	v_fma_f64 v[176:177], v[118:119], s[14:15], -v[247:248]
	s_delay_alu instid0(VALU_DEP_2) | instskip(NEXT) | instid1(VALU_DEP_2)
	v_add_f64_e32 v[22:23], v[174:175], v[22:23]
	v_add_f64_e32 v[176:177], v[176:177], v[235:236]
	v_fma_f64 v[174:175], v[166:167], s[22:23], -v[249:250]
	v_mul_f64_e32 v[235:236], s[14:15], v[186:187]
	v_dual_mov_b32 v249, v24 :: v_dual_mov_b32 v24, v26
	v_dual_mov_b32 v26, v25 :: v_dual_mov_b32 v25, v27
	;; [unrolled: 1-line block ×3, first 2 shown]
	v_add_f64_e32 v[16:17], v[16:17], v[22:23]
	v_mul_f64_e32 v[22:23], s[20:21], v[186:187]
	v_add_f64_e32 v[174:175], v[174:175], v[176:177]
	s_delay_alu instid0(VALU_DEP_3) | instskip(SKIP_1) | instid1(VALU_DEP_3)
	v_add_f64_e32 v[176:177], v[20:21], v[16:17]
	v_mul_f64_e32 v[16:17], s[22:23], v[118:119]
	v_add_f64_e32 v[18:19], v[18:19], v[174:175]
	v_mul_f64_e32 v[20:21], s[26:27], v[166:167]
	;; [unrolled: 2-line block ×3, first 2 shown]
	v_add_f64_e64 v[16:17], v[16:17], -v[211:212]
	v_add_f64_e32 v[174:175], v[14:15], v[18:19]
	v_mul_f64_e32 v[14:15], s[22:23], v[162:163]
	v_mul_f64_e32 v[18:19], s[26:27], v[178:179]
	v_add_f64_e64 v[20:21], v[20:21], -v[213:214]
	v_mul_f64_e32 v[211:212], s[20:21], v[182:183]
	v_mul_f64_e32 v[213:214], s[14:15], v[199:200]
	v_add_f64_e32 v[16:17], v[16:17], v[239:240]
	v_mul_f64_e32 v[239:240], s[22:23], v[199:200]
	v_add_f64_e32 v[14:15], v[215:216], v[14:15]
	v_add_f64_e32 v[18:19], v[221:222], v[18:19]
	v_add_f64_e64 v[211:212], v[211:212], -v[217:218]
	v_add_f64_e32 v[213:214], v[225:226], v[213:214]
	v_mul_f64_e32 v[225:226], s[26:27], v[186:187]
	v_add_f64_e32 v[16:17], v[20:21], v[16:17]
	v_mul_f64_e32 v[20:21], s[12:13], v[178:179]
	;; [unrolled: 2-line block ×3, first 2 shown]
	s_delay_alu instid0(VALU_DEP_4) | instskip(NEXT) | instid1(VALU_DEP_3)
	v_add_f64_e32 v[16:17], v[211:212], v[16:17]
	v_add_f64_e32 v[14:15], v[18:19], v[14:15]
	v_mul_f64_e32 v[18:19], s[14:15], v[190:191]
	s_delay_alu instid0(VALU_DEP_2) | instskip(NEXT) | instid1(VALU_DEP_2)
	v_add_f64_e32 v[14:15], v[22:23], v[14:15]
	v_add_f64_e64 v[18:19], v[18:19], -v[219:220]
	v_fma_f64 v[22:23], v[195:196], s[42:43], v[20:21]
	s_delay_alu instid0(VALU_DEP_3) | instskip(SKIP_1) | instid1(VALU_DEP_4)
	v_add_f64_e32 v[213:214], v[213:214], v[14:15]
	v_mul_f64_e32 v[14:15], s[26:27], v[162:163]
	v_add_f64_e32 v[211:212], v[18:19], v[16:17]
	s_delay_alu instid0(VALU_DEP_2) | instskip(NEXT) | instid1(VALU_DEP_1)
	v_fma_f64 v[16:17], v[172:173], s[30:31], v[14:15]
	v_add_f64_e32 v[4:5], v[16:17], v[4:5]
	v_mul_f64_e32 v[16:17], s[30:31], v[170:171]
	v_mul_f64_e32 v[170:171], s[38:39], v[170:171]
	s_delay_alu instid0(VALU_DEP_3) | instskip(NEXT) | instid1(VALU_DEP_3)
	v_add_f64_e32 v[4:5], v[22:23], v[4:5]
	v_fma_f64 v[18:19], v[118:119], s[26:27], -v[16:17]
	v_mul_f64_e32 v[22:23], s[42:43], v[197:198]
	v_mul_f64_e32 v[197:198], s[18:19], v[197:198]
	s_delay_alu instid0(VALU_DEP_3) | instskip(NEXT) | instid1(VALU_DEP_3)
	v_add_f64_e32 v[18:19], v[18:19], v[237:238]
	v_fma_f64 v[215:216], v[166:167], s[12:13], -v[22:23]
	v_mul_f64_e32 v[237:238], s[18:19], v[205:206]
	v_mul_f64_e32 v[205:206], s[28:29], v[205:206]
	s_delay_alu instid0(VALU_DEP_3) | instskip(SKIP_1) | instid1(VALU_DEP_1)
	v_add_f64_e32 v[18:19], v[215:216], v[18:19]
	v_fma_f64 v[215:216], v[203:204], s[18:19], v[235:236]
	v_add_f64_e32 v[4:5], v[215:216], v[4:5]
	v_fma_f64 v[215:216], v[182:183], s[14:15], -v[237:238]
	s_delay_alu instid0(VALU_DEP_1) | instskip(SKIP_1) | instid1(VALU_DEP_1)
	v_add_f64_e32 v[18:19], v[215:216], v[18:19]
	v_fma_f64 v[215:216], v[207:208], s[34:35], v[239:240]
	v_add_f64_e32 v[217:218], v[215:216], v[4:5]
	v_mul_f64_e32 v[4:5], s[34:35], v[209:210]
	v_mul_f64_e32 v[209:210], s[42:43], v[209:210]
	s_delay_alu instid0(VALU_DEP_2) | instskip(SKIP_1) | instid1(VALU_DEP_2)
	v_fma_f64 v[215:216], v[190:191], s[22:23], -v[4:5]
	v_fma_f64 v[4:5], v[190:191], s[22:23], v[4:5]
	v_add_f64_e32 v[215:216], v[215:216], v[18:19]
	v_mul_f64_e32 v[18:19], s[20:21], v[162:163]
	s_delay_alu instid0(VALU_DEP_1) | instskip(NEXT) | instid1(VALU_DEP_1)
	v_fma_f64 v[219:220], v[172:173], s[38:39], v[18:19]
	v_add_f64_e32 v[2:3], v[219:220], v[2:3]
	v_fma_f64 v[219:220], v[118:119], s[20:21], -v[170:171]
	s_delay_alu instid0(VALU_DEP_1) | instskip(SKIP_1) | instid1(VALU_DEP_1)
	v_add_f64_e32 v[8:9], v[219:220], v[8:9]
	v_fma_f64 v[219:220], v[195:196], s[18:19], v[223:224]
	v_add_f64_e32 v[2:3], v[219:220], v[2:3]
	v_fma_f64 v[219:220], v[166:167], s[14:15], -v[197:198]
	s_delay_alu instid0(VALU_DEP_1) | instskip(SKIP_1) | instid1(VALU_DEP_1)
	v_add_f64_e32 v[8:9], v[219:220], v[8:9]
	;; [unrolled: 5-line block ×3, first 2 shown]
	v_fma_f64 v[219:220], v[207:208], s[42:43], v[241:242]
	v_add_f64_e32 v[221:222], v[219:220], v[2:3]
	v_fma_f64 v[2:3], v[190:191], s[12:13], -v[209:210]
	s_delay_alu instid0(VALU_DEP_1) | instskip(SKIP_2) | instid1(VALU_DEP_2)
	v_add_f64_e32 v[219:220], v[2:3], v[8:9]
	v_fma_f64 v[2:3], v[172:173], s[24:25], v[18:19]
	v_fma_f64 v[8:9], v[195:196], s[36:37], v[223:224]
	v_add_f64_e32 v[0:1], v[2:3], v[0:1]
	v_fma_f64 v[2:3], v[118:119], s[20:21], v[170:171]
	s_delay_alu instid0(VALU_DEP_2) | instskip(NEXT) | instid1(VALU_DEP_2)
	v_add_f64_e32 v[0:1], v[8:9], v[0:1]
	v_add_f64_e32 v[2:3], v[2:3], v[10:11]
	v_fma_f64 v[8:9], v[166:167], s[14:15], v[197:198]
	v_fma_f64 v[10:11], v[190:191], s[12:13], v[209:210]
	s_delay_alu instid0(VALU_DEP_2) | instskip(SKIP_1) | instid1(VALU_DEP_1)
	v_add_f64_e32 v[2:3], v[8:9], v[2:3]
	v_fma_f64 v[8:9], v[203:204], s[30:31], v[225:226]
	v_add_f64_e32 v[0:1], v[8:9], v[0:1]
	v_fma_f64 v[8:9], v[182:183], s[26:27], v[205:206]
	s_delay_alu instid0(VALU_DEP_1) | instskip(SKIP_1) | instid1(VALU_DEP_2)
	v_add_f64_e32 v[2:3], v[8:9], v[2:3]
	v_fma_f64 v[8:9], v[207:208], s[16:17], v[241:242]
	v_add_f64_e32 v[223:224], v[10:11], v[2:3]
	s_delay_alu instid0(VALU_DEP_2)
	v_add_f64_e32 v[225:226], v[8:9], v[0:1]
	v_fma_f64 v[0:1], v[172:173], s[28:29], v[14:15]
	v_fma_f64 v[2:3], v[195:196], s[16:17], v[20:21]
	;; [unrolled: 1-line block ×4, first 2 shown]
	v_mul_f64_e32 v[14:15], s[26:27], v[199:200]
	v_add_f64_e32 v[0:1], v[0:1], v[6:7]
	v_fma_f64 v[6:7], v[118:119], s[26:27], v[16:17]
	s_delay_alu instid0(VALU_DEP_3) | instskip(NEXT) | instid1(VALU_DEP_3)
	v_add_f64_e32 v[14:15], v[201:202], v[14:15]
	v_add_f64_e32 v[0:1], v[2:3], v[0:1]
	s_delay_alu instid0(VALU_DEP_3) | instskip(SKIP_1) | instid1(VALU_DEP_3)
	v_add_f64_e32 v[6:7], v[6:7], v[231:232]
	v_fma_f64 v[2:3], v[166:167], s[12:13], v[22:23]
	v_add_f64_e32 v[0:1], v[8:9], v[0:1]
	v_mul_f64_e32 v[8:9], s[22:23], v[186:187]
	s_delay_alu instid0(VALU_DEP_3) | instskip(SKIP_1) | instid1(VALU_DEP_4)
	v_add_f64_e32 v[2:3], v[2:3], v[6:7]
	v_fma_f64 v[6:7], v[182:183], s[14:15], v[237:238]
	v_add_f64_e32 v[172:173], v[10:11], v[0:1]
	v_mul_f64_e32 v[0:1], s[12:13], v[162:163]
	v_mul_f64_e32 v[10:11], s[22:23], v[182:183]
	s_delay_alu instid0(VALU_DEP_4)
	v_add_f64_e32 v[2:3], v[6:7], v[2:3]
	v_mul_f64_e32 v[6:7], s[20:21], v[166:167]
	v_add_f64_e32 v[8:9], v[188:189], v[8:9]
	v_add_f64_e32 v[0:1], v[164:165], v[0:1]
	v_add_f64_e64 v[10:11], v[10:11], -v[184:185]
	v_add_f64_e32 v[170:171], v[4:5], v[2:3]
	v_mul_f64_e32 v[2:3], s[12:13], v[118:119]
	v_mul_f64_e32 v[4:5], s[20:21], v[178:179]
	v_add_f64_e64 v[6:7], v[6:7], -v[168:169]
	v_add_f64_e32 v[0:1], v[0:1], v[233:234]
	s_delay_alu instid0(VALU_DEP_4) | instskip(NEXT) | instid1(VALU_DEP_4)
	v_add_f64_e64 v[2:3], v[2:3], -v[160:161]
	v_add_f64_e32 v[4:5], v[180:181], v[4:5]
	s_delay_alu instid0(VALU_DEP_2) | instskip(NEXT) | instid1(VALU_DEP_2)
	v_add_f64_e32 v[2:3], v[2:3], v[227:228]
	v_add_f64_e32 v[0:1], v[4:5], v[0:1]
	v_mul_f64_e32 v[4:5], s[26:27], v[190:191]
	s_delay_alu instid0(VALU_DEP_3) | instskip(NEXT) | instid1(VALU_DEP_3)
	v_add_f64_e32 v[2:3], v[6:7], v[2:3]
	v_add_f64_e32 v[0:1], v[8:9], v[0:1]
	s_delay_alu instid0(VALU_DEP_3) | instskip(NEXT) | instid1(VALU_DEP_3)
	v_add_f64_e64 v[4:5], v[4:5], -v[193:194]
	v_add_f64_e32 v[2:3], v[10:11], v[2:3]
	s_delay_alu instid0(VALU_DEP_3) | instskip(SKIP_1) | instid1(VALU_DEP_3)
	v_add_f64_e32 v[162:163], v[14:15], v[0:1]
	v_add_f64_e32 v[0:1], v[229:230], v[134:135]
	;; [unrolled: 1-line block ×4, first 2 shown]
	s_delay_alu instid0(VALU_DEP_3) | instskip(NEXT) | instid1(VALU_DEP_2)
	v_add_f64_e32 v[0:1], v[0:1], v[138:139]
	v_add_f64_e32 v[2:3], v[2:3], v[136:137]
	s_delay_alu instid0(VALU_DEP_2) | instskip(NEXT) | instid1(VALU_DEP_2)
	v_add_f64_e32 v[0:1], v[0:1], v[150:151]
	v_add_f64_e32 v[2:3], v[2:3], v[146:147]
	s_delay_alu instid0(VALU_DEP_2) | instskip(NEXT) | instid1(VALU_DEP_2)
	;; [unrolled: 3-line block ×6, first 2 shown]
	v_add_f64_e32 v[0:1], v[0:1], v[128:129]
	v_add_f64_e32 v[2:3], v[2:3], v[130:131]
	s_delay_alu instid0(VALU_DEP_2) | instskip(SKIP_1) | instid1(VALU_DEP_1)
	v_add_f64_e32 v[114:115], v[0:1], v[124:125]
	v_mul_u32_u24_e32 v0, 0xa5, v26
	v_add_lshl_u32 v0, v0, v25, 4
	s_delay_alu instid0(VALU_DEP_4)
	v_add_f64_e32 v[112:113], v[2:3], v[126:127]
	ds_store_b128 v0, v[211:214] offset:480
	ds_store_b128 v0, v[215:218] offset:720
	;; [unrolled: 1-line block ×9, first 2 shown]
	ds_store_b128 v0, v[112:115]
	ds_store_b128 v0, v[120:123] offset:2400
.LBB0_9:
	s_wait_alu 0xfffe
	s_or_b32 exec_lo, exec_lo, s1
	v_lshlrev_b32_e32 v132, 5, v243
	global_wb scope:SCOPE_SE
	s_wait_dscnt 0x0
	s_barrier_signal -1
	s_barrier_wait -1
	global_inv scope:SCOPE_SE
	s_clause 0x1
	global_load_b128 v[112:115], v132, s[10:11] offset:2592
	global_load_b128 v[108:111], v132, s[10:11] offset:2608
	v_and_b32_e32 v16, 0xffff, v253
	ds_load_b128 v[116:119], v244 offset:7920
	ds_load_b128 v[133:136], v244 offset:5280
	;; [unrolled: 1-line block ×4, first 2 shown]
	s_mov_b32 s12, 0xe8584caa
	s_mov_b32 s13, 0x3febb67a
	v_mul_u32_u24_e32 v16, 0x8d31, v16
	s_mov_b32 s15, 0xbfebb67a
	s_wait_alu 0xfffe
	s_mov_b32 s14, s12
	s_add_nc_u64 s[8:9], s[8:9], 0x5cd0
	ds_load_b128 v[137:140], v244 offset:13200
	v_lshrrev_b32_e32 v16, 16, v16
	s_delay_alu instid0(VALU_DEP_1) | instskip(NEXT) | instid1(VALU_DEP_1)
	v_sub_nc_u16 v17, v253, v16
	v_lshrrev_b16 v17, 1, v17
	s_delay_alu instid0(VALU_DEP_1) | instskip(NEXT) | instid1(VALU_DEP_1)
	v_add_nc_u16 v16, v17, v16
	v_lshrrev_b16 v16, 7, v16
	s_delay_alu instid0(VALU_DEP_1) | instskip(NEXT) | instid1(VALU_DEP_1)
	v_mul_lo_u16 v16, 0xa5, v16
	v_sub_nc_u16 v149, v253, v16
	s_delay_alu instid0(VALU_DEP_1) | instskip(NEXT) | instid1(VALU_DEP_1)
	v_lshlrev_b16 v16, 5, v149
	v_and_b32_e32 v16, 0xffff, v16
	s_delay_alu instid0(VALU_DEP_1)
	v_add_co_u32 v16, s1, s10, v16
	s_wait_alu 0xf1ff
	v_add_co_ci_u32_e64 v17, null, s11, 0, s1
	s_wait_loadcnt_dscnt 0x104
	v_mul_f64_e32 v[0:1], v[118:119], v[114:115]
	v_mul_f64_e32 v[2:3], v[116:117], v[114:115]
	s_wait_loadcnt_dscnt 0x2
	v_mul_f64_e32 v[4:5], v[126:127], v[110:111]
	v_mul_f64_e32 v[6:7], v[124:125], v[110:111]
	s_wait_dscnt 0x1
	v_mul_f64_e32 v[12:13], v[130:131], v[110:111]
	v_mul_f64_e32 v[14:15], v[128:129], v[110:111]
	v_fma_f64 v[0:1], v[116:117], v[112:113], -v[0:1]
	v_fma_f64 v[2:3], v[118:119], v[112:113], v[2:3]
	ds_load_b128 v[116:119], v244 offset:10560
	v_fma_f64 v[4:5], v[124:125], v[108:109], -v[4:5]
	v_fma_f64 v[6:7], v[126:127], v[108:109], v[6:7]
	v_fma_f64 v[12:13], v[128:129], v[108:109], -v[12:13]
	v_fma_f64 v[14:15], v[130:131], v[108:109], v[14:15]
	s_clause 0x1
	global_load_b128 v[128:131], v[16:17], off offset:2592
	global_load_b128 v[124:127], v[16:17], off offset:2608
	s_wait_dscnt 0x0
	v_mul_f64_e32 v[8:9], v[118:119], v[114:115]
	v_mul_f64_e32 v[10:11], v[116:117], v[114:115]
	v_add_f64_e32 v[141:142], v[0:1], v[4:5]
	s_delay_alu instid0(VALU_DEP_3) | instskip(NEXT) | instid1(VALU_DEP_3)
	v_fma_f64 v[8:9], v[116:117], v[112:113], -v[8:9]
	v_fma_f64 v[10:11], v[118:119], v[112:113], v[10:11]
	ds_load_b128 v[116:119], v244 offset:21120
	s_wait_loadcnt 0x1
	v_mul_f64_e32 v[16:17], v[139:140], v[130:131]
	v_mul_f64_e32 v[18:19], v[137:138], v[130:131]
	s_wait_loadcnt_dscnt 0x0
	v_mul_f64_e32 v[20:21], v[118:119], v[126:127]
	v_mul_f64_e32 v[22:23], v[116:117], v[126:127]
	s_delay_alu instid0(VALU_DEP_4) | instskip(NEXT) | instid1(VALU_DEP_4)
	v_fma_f64 v[16:17], v[137:138], v[128:129], -v[16:17]
	v_fma_f64 v[18:19], v[139:140], v[128:129], v[18:19]
	s_delay_alu instid0(VALU_DEP_4) | instskip(NEXT) | instid1(VALU_DEP_4)
	v_fma_f64 v[20:21], v[116:117], v[124:125], -v[20:21]
	v_fma_f64 v[22:23], v[118:119], v[124:125], v[22:23]
	ds_load_b128 v[116:119], v244
	ds_load_b128 v[137:140], v244 offset:2640
	global_wb scope:SCOPE_SE
	s_wait_dscnt 0x0
	s_barrier_signal -1
	s_barrier_wait -1
	global_inv scope:SCOPE_SE
	v_fma_f64 v[143:144], v[141:142], -0.5, v[116:117]
	v_add_f64_e32 v[141:142], v[2:3], v[6:7]
	v_add_f64_e32 v[116:117], v[116:117], v[0:1]
	v_add_f64_e64 v[0:1], v[0:1], -v[4:5]
	s_delay_alu instid0(VALU_DEP_3) | instskip(SKIP_4) | instid1(VALU_DEP_4)
	v_fma_f64 v[147:148], v[141:142], -0.5, v[118:119]
	v_add_f64_e32 v[118:119], v[118:119], v[2:3]
	v_add_f64_e64 v[2:3], v[2:3], -v[6:7]
	v_add_f64_e32 v[116:117], v[116:117], v[4:5]
	v_add_f64_e32 v[4:5], v[139:140], v[10:11]
	;; [unrolled: 1-line block ×3, first 2 shown]
	s_delay_alu instid0(VALU_DEP_4)
	v_fma_f64 v[141:142], v[2:3], s[12:13], v[143:144]
	s_wait_alu 0xfffe
	v_fma_f64 v[145:146], v[2:3], s[14:15], v[143:144]
	v_fma_f64 v[143:144], v[0:1], s[14:15], v[147:148]
	;; [unrolled: 1-line block ×3, first 2 shown]
	v_add_f64_e32 v[0:1], v[8:9], v[12:13]
	v_add_f64_e32 v[2:3], v[10:11], v[14:15]
	v_add_f64_e64 v[10:11], v[10:11], -v[14:15]
	v_add_f64_e32 v[6:7], v[137:138], v[8:9]
	s_delay_alu instid0(VALU_DEP_4) | instskip(NEXT) | instid1(VALU_DEP_4)
	v_fma_f64 v[0:1], v[0:1], -0.5, v[137:138]
	v_fma_f64 v[2:3], v[2:3], -0.5, v[139:140]
	v_add_f64_e32 v[139:140], v[4:5], v[14:15]
	v_add_f64_e64 v[4:5], v[8:9], -v[12:13]
	v_add_f64_e32 v[137:138], v[6:7], v[12:13]
	v_add_f64_e32 v[6:7], v[133:134], v[16:17]
	v_add_f64_e64 v[8:9], v[18:19], -v[22:23]
	v_fma_f64 v[158:159], v[10:11], s[12:13], v[0:1]
	v_fma_f64 v[162:163], v[10:11], s[14:15], v[0:1]
	v_add_f64_e32 v[0:1], v[16:17], v[20:21]
	v_fma_f64 v[160:161], v[4:5], s[14:15], v[2:3]
	v_fma_f64 v[164:165], v[4:5], s[12:13], v[2:3]
	v_add_f64_e32 v[2:3], v[18:19], v[22:23]
	v_add_f64_e32 v[4:5], v[135:136], v[18:19]
	ds_store_b128 v244, v[116:119]
	ds_store_b128 v244, v[141:144] offset:2640
	ds_store_b128 v244, v[137:140] offset:7920
	ds_store_b128 v244, v[145:148] offset:5280
	ds_store_b128 v244, v[158:161] offset:10560
	v_fma_f64 v[0:1], v[0:1], -0.5, v[133:134]
	v_add_f64_e32 v[133:134], v[6:7], v[20:21]
	v_fma_f64 v[2:3], v[2:3], -0.5, v[135:136]
	v_add_f64_e32 v[135:136], v[4:5], v[22:23]
	v_add_f64_e64 v[4:5], v[16:17], -v[20:21]
	v_lshlrev_b32_e32 v16, 5, v253
	v_fma_f64 v[166:167], v[8:9], s[12:13], v[0:1]
	v_fma_f64 v[170:171], v[8:9], s[14:15], v[0:1]
	v_and_b32_e32 v0, 0xffff, v149
	v_lshlrev_b32_e32 v8, 5, v254
	v_fma_f64 v[168:169], v[4:5], s[14:15], v[2:3]
	v_fma_f64 v[172:173], v[4:5], s[12:13], v[2:3]
	s_delay_alu instid0(VALU_DEP_4)
	v_lshlrev_b32_e32 v193, 4, v0
	ds_store_b128 v244, v[162:165] offset:13200
	ds_store_b128 v193, v[133:136] offset:15840
	;; [unrolled: 1-line block ×4, first 2 shown]
	global_wb scope:SCOPE_SE
	s_wait_dscnt 0x0
	s_barrier_signal -1
	s_barrier_wait -1
	global_inv scope:SCOPE_SE
	s_clause 0x1
	global_load_b128 v[116:119], v132, s[10:11] offset:7872
	global_load_b128 v[132:135], v132, s[10:11] offset:7888
	ds_load_b128 v[136:139], v244 offset:7920
	ds_load_b128 v[158:161], v244 offset:5280
	s_wait_loadcnt_dscnt 0x101
	v_mul_f64_e32 v[0:1], v[138:139], v[118:119]
	v_mul_f64_e32 v[2:3], v[136:137], v[118:119]
	s_delay_alu instid0(VALU_DEP_2) | instskip(NEXT) | instid1(VALU_DEP_2)
	v_fma_f64 v[0:1], v[136:137], v[116:117], -v[0:1]
	v_fma_f64 v[2:3], v[138:139], v[116:117], v[2:3]
	ds_load_b128 v[136:139], v244 offset:15840
	ds_load_b128 v[144:147], v244 offset:18480
	s_wait_loadcnt_dscnt 0x1
	v_mul_f64_e32 v[4:5], v[138:139], v[134:135]
	v_mul_f64_e32 v[6:7], v[136:137], v[134:135]
	s_delay_alu instid0(VALU_DEP_2) | instskip(NEXT) | instid1(VALU_DEP_2)
	v_fma_f64 v[4:5], v[136:137], v[132:133], -v[4:5]
	v_fma_f64 v[6:7], v[138:139], v[132:133], v[6:7]
	s_clause 0x1
	global_load_b128 v[140:143], v8, s[10:11] offset:7872
	global_load_b128 v[136:139], v8, s[10:11] offset:7888
	ds_load_b128 v[148:151], v244 offset:10560
	ds_load_b128 v[162:165], v244 offset:13200
	v_add_f64_e32 v[170:171], v[0:1], v[4:5]
	s_wait_loadcnt_dscnt 0x101
	v_mul_f64_e32 v[8:9], v[150:151], v[142:143]
	v_mul_f64_e32 v[10:11], v[148:149], v[142:143]
	s_wait_loadcnt 0x0
	v_mul_f64_e32 v[12:13], v[146:147], v[138:139]
	v_mul_f64_e32 v[14:15], v[144:145], v[138:139]
	s_delay_alu instid0(VALU_DEP_4) | instskip(NEXT) | instid1(VALU_DEP_4)
	v_fma_f64 v[8:9], v[148:149], v[140:141], -v[8:9]
	v_fma_f64 v[10:11], v[150:151], v[140:141], v[10:11]
	s_delay_alu instid0(VALU_DEP_4) | instskip(NEXT) | instid1(VALU_DEP_4)
	v_fma_f64 v[12:13], v[144:145], v[136:137], -v[12:13]
	v_fma_f64 v[14:15], v[146:147], v[136:137], v[14:15]
	s_clause 0x1
	global_load_b128 v[148:151], v16, s[10:11] offset:7872
	global_load_b128 v[144:147], v16, s[10:11] offset:7888
	s_wait_loadcnt_dscnt 0x100
	v_mul_f64_e32 v[16:17], v[164:165], v[150:151]
	v_mul_f64_e32 v[18:19], v[162:163], v[150:151]
	s_delay_alu instid0(VALU_DEP_2) | instskip(NEXT) | instid1(VALU_DEP_2)
	v_fma_f64 v[16:17], v[162:163], v[148:149], -v[16:17]
	v_fma_f64 v[18:19], v[164:165], v[148:149], v[18:19]
	ds_load_b128 v[162:165], v244 offset:21120
	s_wait_loadcnt_dscnt 0x0
	v_mul_f64_e32 v[20:21], v[164:165], v[146:147]
	v_mul_f64_e32 v[22:23], v[162:163], v[146:147]
	s_delay_alu instid0(VALU_DEP_2) | instskip(NEXT) | instid1(VALU_DEP_2)
	v_fma_f64 v[20:21], v[162:163], v[144:145], -v[20:21]
	v_fma_f64 v[22:23], v[164:165], v[144:145], v[22:23]
	ds_load_b128 v[162:165], v244
	ds_load_b128 v[166:169], v244 offset:2640
	s_wait_dscnt 0x1
	v_fma_f64 v[172:173], v[170:171], -0.5, v[162:163]
	v_add_f64_e32 v[170:171], v[2:3], v[6:7]
	v_add_f64_e32 v[162:163], v[162:163], v[0:1]
	v_add_f64_e64 v[0:1], v[0:1], -v[4:5]
	s_delay_alu instid0(VALU_DEP_3)
	v_fma_f64 v[176:177], v[170:171], -0.5, v[164:165]
	v_add_f64_e32 v[164:165], v[164:165], v[2:3]
	v_add_f64_e64 v[2:3], v[2:3], -v[6:7]
	v_add_f64_e32 v[162:163], v[162:163], v[4:5]
	s_wait_dscnt 0x0
	v_add_f64_e32 v[4:5], v[168:169], v[10:11]
	s_delay_alu instid0(VALU_DEP_4) | instskip(NEXT) | instid1(VALU_DEP_4)
	v_add_f64_e32 v[164:165], v[164:165], v[6:7]
	v_fma_f64 v[170:171], v[2:3], s[12:13], v[172:173]
	v_fma_f64 v[174:175], v[2:3], s[14:15], v[172:173]
	;; [unrolled: 1-line block ×4, first 2 shown]
	v_add_f64_e32 v[0:1], v[8:9], v[12:13]
	v_add_f64_e32 v[2:3], v[10:11], v[14:15]
	v_add_f64_e64 v[10:11], v[10:11], -v[14:15]
	v_add_f64_e32 v[6:7], v[166:167], v[8:9]
	s_delay_alu instid0(VALU_DEP_4) | instskip(NEXT) | instid1(VALU_DEP_4)
	v_fma_f64 v[0:1], v[0:1], -0.5, v[166:167]
	v_fma_f64 v[2:3], v[2:3], -0.5, v[168:169]
	v_add_f64_e32 v[168:169], v[4:5], v[14:15]
	v_add_f64_e64 v[4:5], v[8:9], -v[12:13]
	v_add_f64_e32 v[166:167], v[6:7], v[12:13]
	v_add_f64_e32 v[6:7], v[158:159], v[16:17]
	v_add_f64_e64 v[8:9], v[18:19], -v[22:23]
	v_fma_f64 v[178:179], v[10:11], s[12:13], v[0:1]
	v_fma_f64 v[182:183], v[10:11], s[14:15], v[0:1]
	v_add_f64_e32 v[0:1], v[16:17], v[20:21]
	v_fma_f64 v[184:185], v[4:5], s[12:13], v[2:3]
	v_fma_f64 v[180:181], v[4:5], s[14:15], v[2:3]
	v_add_f64_e32 v[2:3], v[18:19], v[22:23]
	v_add_f64_e32 v[4:5], v[160:161], v[18:19]
	v_fma_f64 v[0:1], v[0:1], -0.5, v[158:159]
	v_add_f64_e32 v[158:159], v[6:7], v[20:21]
	s_delay_alu instid0(VALU_DEP_4) | instskip(NEXT) | instid1(VALU_DEP_4)
	v_fma_f64 v[2:3], v[2:3], -0.5, v[160:161]
	v_add_f64_e32 v[160:161], v[4:5], v[22:23]
	v_add_f64_e64 v[4:5], v[16:17], -v[20:21]
	v_fma_f64 v[186:187], v[8:9], s[12:13], v[0:1]
	v_fma_f64 v[194:195], v[8:9], s[14:15], v[0:1]
	s_delay_alu instid0(VALU_DEP_3)
	v_fma_f64 v[188:189], v[4:5], s[14:15], v[2:3]
	v_fma_f64 v[196:197], v[4:5], s[12:13], v[2:3]
	ds_store_b128 v244, v[162:165]
	ds_store_b128 v244, v[166:169] offset:2640
	ds_store_b128 v244, v[174:177] offset:15840
	;; [unrolled: 1-line block ×8, first 2 shown]
	global_wb scope:SCOPE_SE
	s_wait_dscnt 0x0
	s_barrier_signal -1
	s_barrier_wait -1
	global_inv scope:SCOPE_SE
	global_load_b128 v[156:159], v[156:157], off offset:23760
	v_lshlrev_b32_e32 v4, 4, v243
	ds_load_b128 v[160:163], v244
	ds_load_b128 v[164:167], v244 offset:2640
	ds_load_b128 v[172:175], v244 offset:7920
	;; [unrolled: 1-line block ×3, first 2 shown]
	s_clause 0x2
	global_load_b128 v[168:171], v4, s[8:9] offset:7920
	global_load_b128 v[176:179], v4, s[8:9] offset:10560
	;; [unrolled: 1-line block ×3, first 2 shown]
	ds_load_b128 v[188:191], v244 offset:15840
	ds_load_b128 v[194:197], v244 offset:18480
	s_clause 0x2
	global_load_b128 v[198:201], v4, s[8:9] offset:13200
	global_load_b128 v[202:205], v4, s[8:9] offset:2640
	global_load_b128 v[206:209], v4, s[8:9] offset:5280
	s_wait_loadcnt_dscnt 0x605
	v_mul_f64_e32 v[0:1], v[162:163], v[158:159]
	v_mul_f64_e32 v[2:3], v[160:161], v[158:159]
	s_delay_alu instid0(VALU_DEP_2) | instskip(NEXT) | instid1(VALU_DEP_2)
	v_fma_f64 v[158:159], v[160:161], v[156:157], -v[0:1]
	v_fma_f64 v[160:161], v[162:163], v[156:157], v[2:3]
	s_wait_loadcnt_dscnt 0x503
	v_mul_f64_e32 v[0:1], v[174:175], v[170:171]
	v_mul_f64_e32 v[2:3], v[172:173], v[170:171]
	s_delay_alu instid0(VALU_DEP_2) | instskip(NEXT) | instid1(VALU_DEP_2)
	v_fma_f64 v[170:171], v[172:173], v[168:169], -v[0:1]
	v_fma_f64 v[172:173], v[174:175], v[168:169], v[2:3]
	;; [unrolled: 6-line block ×3, first 2 shown]
	s_wait_loadcnt 0x1
	v_mul_f64_e32 v[0:1], v[166:167], v[204:205]
	v_mul_f64_e32 v[2:3], v[164:165], v[204:205]
	s_delay_alu instid0(VALU_DEP_2) | instskip(NEXT) | instid1(VALU_DEP_2)
	v_fma_f64 v[162:163], v[164:165], v[202:203], -v[0:1]
	v_fma_f64 v[164:165], v[166:167], v[202:203], v[2:3]
	ds_load_b128 v[166:169], v244 offset:10560
	ds_load_b128 v[202:205], v244 offset:13200
	s_wait_dscnt 0x1
	v_mul_f64_e32 v[0:1], v[168:169], v[178:179]
	v_mul_f64_e32 v[2:3], v[166:167], v[178:179]
	s_delay_alu instid0(VALU_DEP_2) | instskip(NEXT) | instid1(VALU_DEP_2)
	v_fma_f64 v[166:167], v[166:167], v[176:177], -v[0:1]
	v_fma_f64 v[168:169], v[168:169], v[176:177], v[2:3]
	s_clause 0x1
	global_load_b128 v[174:177], v4, s[8:9] offset:18480
	global_load_b128 v[210:213], v4, s[8:9] offset:21120
	s_wait_loadcnt 0x1
	v_mul_f64_e32 v[0:1], v[196:197], v[176:177]
	v_mul_f64_e32 v[2:3], v[194:195], v[176:177]
	s_delay_alu instid0(VALU_DEP_2) | instskip(NEXT) | instid1(VALU_DEP_2)
	v_fma_f64 v[176:177], v[194:195], v[174:175], -v[0:1]
	v_fma_f64 v[178:179], v[196:197], v[174:175], v[2:3]
	v_mul_f64_e32 v[0:1], v[182:183], v[208:209]
	v_mul_f64_e32 v[2:3], v[180:181], v[208:209]
	s_delay_alu instid0(VALU_DEP_2) | instskip(NEXT) | instid1(VALU_DEP_2)
	v_fma_f64 v[180:181], v[180:181], v[206:207], -v[0:1]
	v_fma_f64 v[182:183], v[182:183], v[206:207], v[2:3]
	s_wait_dscnt 0x0
	v_mul_f64_e32 v[0:1], v[204:205], v[200:201]
	v_mul_f64_e32 v[2:3], v[202:203], v[200:201]
	s_delay_alu instid0(VALU_DEP_2) | instskip(NEXT) | instid1(VALU_DEP_2)
	v_fma_f64 v[194:195], v[202:203], v[198:199], -v[0:1]
	v_fma_f64 v[196:197], v[204:205], v[198:199], v[2:3]
	ds_load_b128 v[198:201], v244 offset:21120
	s_wait_loadcnt_dscnt 0x0
	v_mul_f64_e32 v[0:1], v[200:201], v[212:213]
	v_mul_f64_e32 v[2:3], v[198:199], v[212:213]
	s_delay_alu instid0(VALU_DEP_2) | instskip(NEXT) | instid1(VALU_DEP_2)
	v_fma_f64 v[198:199], v[198:199], v[210:211], -v[0:1]
	v_fma_f64 v[200:201], v[200:201], v[210:211], v[2:3]
	ds_store_b128 v244, v[158:161]
	ds_store_b128 v244, v[162:165] offset:2640
	ds_store_b128 v244, v[186:189] offset:15840
	;; [unrolled: 1-line block ×8, first 2 shown]
	global_wb scope:SCOPE_SE
	s_wait_dscnt 0x0
	s_barrier_signal -1
	s_barrier_wait -1
	global_inv scope:SCOPE_SE
	ds_load_b128 v[156:159], v244 offset:7920
	ds_load_b128 v[160:163], v244
	ds_load_b128 v[168:171], v244 offset:2640
	ds_load_b128 v[172:175], v244 offset:5280
	;; [unrolled: 1-line block ×4, first 2 shown]
	s_wait_dscnt 0x4
	v_add_f64_e32 v[0:1], v[160:161], v[156:157]
	v_add_f64_e32 v[2:3], v[162:163], v[158:159]
	s_wait_dscnt 0x1
	v_add_f64_e32 v[4:5], v[156:157], v[164:165]
	v_add_f64_e32 v[6:7], v[158:159], v[166:167]
	v_add_f64_e64 v[8:9], v[158:159], -v[166:167]
	v_add_f64_e64 v[10:11], v[156:157], -v[164:165]
	v_add_f64_e32 v[156:157], v[0:1], v[164:165]
	v_add_f64_e32 v[158:159], v[2:3], v[166:167]
	ds_load_b128 v[164:167], v244 offset:10560
	ds_load_b128 v[180:183], v244 offset:13200
	s_wait_dscnt 0x1
	v_add_f64_e32 v[0:1], v[168:169], v[164:165]
	v_add_f64_e32 v[2:3], v[170:171], v[166:167]
	;; [unrolled: 1-line block ×4, first 2 shown]
	v_add_f64_e64 v[16:17], v[166:167], -v[178:179]
	v_add_f64_e64 v[18:19], v[164:165], -v[176:177]
	ds_load_b128 v[164:167], v244 offset:21120
	global_wb scope:SCOPE_SE
	s_wait_dscnt 0x0
	s_barrier_signal -1
	s_barrier_wait -1
	global_inv scope:SCOPE_SE
	v_add_f64_e32 v[20:21], v[180:181], v[164:165]
	v_add_f64_e32 v[22:23], v[182:183], v[166:167]
	v_add_f64_e64 v[184:185], v[182:183], -v[166:167]
	v_add_f64_e64 v[186:187], v[180:181], -v[164:165]
	v_add_f64_e32 v[176:177], v[0:1], v[176:177]
	v_add_f64_e32 v[178:179], v[2:3], v[178:179]
	;; [unrolled: 1-line block ×4, first 2 shown]
	s_delay_alu instid0(VALU_DEP_2) | instskip(NEXT) | instid1(VALU_DEP_2)
	v_add_f64_e32 v[164:165], v[0:1], v[164:165]
	v_add_f64_e32 v[166:167], v[2:3], v[166:167]
	v_fma_f64 v[0:1], v[4:5], -0.5, v[160:161]
	v_fma_f64 v[2:3], v[6:7], -0.5, v[162:163]
	;; [unrolled: 1-line block ×4, first 2 shown]
	s_delay_alu instid0(VALU_DEP_4)
	v_fma_f64 v[160:161], v[8:9], s[14:15], v[0:1]
	v_fma_f64 v[180:181], v[8:9], s[12:13], v[0:1]
	;; [unrolled: 1-line block ×4, first 2 shown]
	v_fma_f64 v[0:1], v[12:13], -0.5, v[168:169]
	v_fma_f64 v[2:3], v[14:15], -0.5, v[170:171]
	ds_store_b128 v250, v[156:159]
	ds_store_b128 v250, v[160:163] offset:16
	ds_store_b128 v250, v[180:183] offset:32
	v_fma_f64 v[168:169], v[184:185], s[14:15], v[4:5]
	v_fma_f64 v[170:171], v[186:187], s[12:13], v[6:7]
	;; [unrolled: 1-line block ×8, first 2 shown]
	ds_store_b128 v251, v[176:179]
	ds_store_b128 v251, v[160:163] offset:16
	ds_store_b128 v251, v[156:159] offset:32
	ds_store_b128 v245, v[164:167]
	ds_store_b128 v245, v[168:171] offset:16
	ds_store_b128 v245, v[172:175] offset:32
	global_wb scope:SCOPE_SE
	s_wait_dscnt 0x0
	s_barrier_signal -1
	s_barrier_wait -1
	global_inv scope:SCOPE_SE
	ds_load_b128 v[160:163], v244
	ds_load_b128 v[188:191], v244 offset:4752
	ds_load_b128 v[176:179], v244 offset:9504
	;; [unrolled: 1-line block ×4, first 2 shown]
	s_and_saveexec_b32 s1, vcc_lo
	s_cbranch_execz .LBB0_11
; %bb.10:
	ds_load_b128 v[156:159], v244 offset:2640
	ds_load_b128 v[164:167], v244 offset:7392
	;; [unrolled: 1-line block ×5, first 2 shown]
.LBB0_11:
	s_wait_alu 0xfffe
	s_or_b32 exec_lo, exec_lo, s1
	s_wait_dscnt 0x3
	v_mul_f64_e32 v[0:1], v[54:55], v[190:191]
	s_wait_dscnt 0x2
	v_mul_f64_e32 v[2:3], v[46:47], v[178:179]
	;; [unrolled: 2-line block ×3, first 2 shown]
	v_mul_f64_e32 v[6:7], v[54:55], v[188:189]
	s_wait_dscnt 0x0
	v_mul_f64_e32 v[8:9], v[50:51], v[186:187]
	v_mul_f64_e32 v[10:11], v[46:47], v[176:177]
	;; [unrolled: 1-line block ×12, first 2 shown]
	s_mov_b32 s8, 0x134454ff
	s_mov_b32 s9, 0xbfee6f0e
	;; [unrolled: 1-line block ×3, first 2 shown]
	s_wait_alu 0xfffe
	s_mov_b32 s10, s8
	global_wb scope:SCOPE_SE
	s_barrier_signal -1
	s_barrier_wait -1
	global_inv scope:SCOPE_SE
	v_fma_f64 v[0:1], v[52:53], v[188:189], v[0:1]
	v_fma_f64 v[2:3], v[44:45], v[176:177], v[2:3]
	;; [unrolled: 1-line block ×3, first 2 shown]
	v_fma_f64 v[6:7], v[52:53], v[190:191], -v[6:7]
	v_fma_f64 v[8:9], v[48:49], v[184:185], v[8:9]
	v_fma_f64 v[10:11], v[44:45], v[178:179], -v[10:11]
	v_fma_f64 v[12:13], v[40:41], v[182:183], -v[12:13]
	;; [unrolled: 1-line block ×3, first 2 shown]
	v_fma_f64 v[16:17], v[68:69], v[164:165], v[16:17]
	v_fma_f64 v[18:19], v[64:65], v[168:169], v[18:19]
	;; [unrolled: 1-line block ×3, first 2 shown]
	v_fma_f64 v[22:23], v[68:69], v[166:167], -v[22:23]
	v_fma_f64 v[44:45], v[56:57], v[152:153], v[42:43]
	v_fma_f64 v[40:41], v[64:65], v[170:171], -v[46:47]
	v_fma_f64 v[42:43], v[60:61], v[174:175], -v[50:51]
	;; [unrolled: 1-line block ×3, first 2 shown]
	v_add_f64_e32 v[64:65], v[160:161], v[0:1]
	v_add_f64_e32 v[48:49], v[2:3], v[4:5]
	v_add_f64_e32 v[70:71], v[162:163], v[6:7]
	v_add_f64_e32 v[50:51], v[0:1], v[8:9]
	v_add_f64_e64 v[164:165], v[0:1], -v[8:9]
	v_add_f64_e32 v[52:53], v[10:11], v[12:13]
	v_add_f64_e32 v[54:55], v[6:7], v[14:15]
	v_add_f64_e64 v[66:67], v[6:7], -v[14:15]
	v_add_f64_e64 v[68:69], v[10:11], -v[12:13]
	v_add_f64_e32 v[56:57], v[18:19], v[20:21]
	v_add_f64_e32 v[152:153], v[156:157], v[16:17]
	;; [unrolled: 1-line block ×6, first 2 shown]
	v_add_f64_e64 v[166:167], v[22:23], -v[46:47]
	v_add_f64_e64 v[168:169], v[16:17], -v[44:45]
	;; [unrolled: 1-line block ×16, first 2 shown]
	v_fma_f64 v[48:49], v[48:49], -0.5, v[160:161]
	v_add_f64_e32 v[10:11], v[70:71], v[10:11]
	v_fma_f64 v[50:51], v[50:51], -0.5, v[160:161]
	v_add_f64_e64 v[160:161], v[2:3], -v[4:5]
	v_fma_f64 v[52:53], v[52:53], -0.5, v[162:163]
	v_fma_f64 v[54:55], v[54:55], -0.5, v[162:163]
	v_add_f64_e64 v[162:163], v[40:41], -v[42:43]
	v_fma_f64 v[56:57], v[56:57], -0.5, v[156:157]
	;; [unrolled: 3-line block ×3, first 2 shown]
	v_fma_f64 v[62:63], v[62:63], -0.5, v[158:159]
	v_add_f64_e64 v[158:159], v[0:1], -v[2:3]
	v_add_f64_e64 v[0:1], v[2:3], -v[0:1]
	v_add_f64_e32 v[2:3], v[64:65], v[2:3]
	v_add_f64_e32 v[18:19], v[152:153], v[18:19]
	;; [unrolled: 1-line block ×6, first 2 shown]
	v_fma_f64 v[64:65], v[66:67], s[8:9], v[48:49]
	s_wait_alu 0xfffe
	v_fma_f64 v[48:49], v[66:67], s[10:11], v[48:49]
	v_fma_f64 v[70:71], v[68:69], s[10:11], v[50:51]
	v_fma_f64 v[50:51], v[68:69], s[8:9], v[50:51]
	v_fma_f64 v[152:153], v[164:165], s[10:11], v[52:53]
	v_fma_f64 v[52:53], v[164:165], s[8:9], v[52:53]
	v_fma_f64 v[154:155], v[160:161], s[8:9], v[54:55]
	v_fma_f64 v[54:55], v[160:161], s[10:11], v[54:55]
	v_fma_f64 v[194:195], v[166:167], s[8:9], v[56:57]
	v_fma_f64 v[56:57], v[166:167], s[10:11], v[56:57]
	v_fma_f64 v[196:197], v[162:163], s[10:11], v[58:59]
	v_fma_f64 v[58:59], v[162:163], s[8:9], v[58:59]
	v_fma_f64 v[198:199], v[168:169], s[10:11], v[60:61]
	v_fma_f64 v[60:61], v[168:169], s[8:9], v[60:61]
	v_fma_f64 v[200:201], v[156:157], s[8:9], v[62:63]
	v_fma_f64 v[62:63], v[156:157], s[10:11], v[62:63]
	s_mov_b32 s8, 0x4755a5e
	s_mov_b32 s9, 0xbfe2cf23
	;; [unrolled: 1-line block ×3, first 2 shown]
	s_wait_alu 0xfffe
	s_mov_b32 s10, s8
	v_add_f64_e32 v[158:159], v[158:159], v[170:171]
	v_add_f64_e32 v[0:1], v[0:1], v[172:173]
	;; [unrolled: 1-line block ×9, first 2 shown]
	v_fma_f64 v[18:19], v[68:69], s[8:9], v[64:65]
	s_wait_alu 0xfffe
	v_fma_f64 v[20:21], v[68:69], s[10:11], v[48:49]
	v_fma_f64 v[48:49], v[66:67], s[8:9], v[70:71]
	;; [unrolled: 1-line block ×15, first 2 shown]
	s_mov_b32 s8, 0x372fe950
	s_mov_b32 s9, 0x3fd3c6ef
	v_add_f64_e32 v[40:41], v[2:3], v[8:9]
	v_add_f64_e32 v[42:43], v[4:5], v[14:15]
	;; [unrolled: 1-line block ×4, first 2 shown]
	s_wait_alu 0xfffe
	v_fma_f64 v[52:53], v[158:159], s[8:9], v[18:19]
	v_fma_f64 v[56:57], v[158:159], s[8:9], v[20:21]
	;; [unrolled: 1-line block ×16, first 2 shown]
	ds_store_b128 v252, v[40:43]
	ds_store_b128 v252, v[52:55] offset:48
	ds_store_b128 v252, v[44:47] offset:96
	;; [unrolled: 1-line block ×4, first 2 shown]
	s_and_saveexec_b32 s1, vcc_lo
	s_cbranch_execz .LBB0_13
; %bb.12:
	v_mad_u16 v0, v255, 15, v24
	s_delay_alu instid0(VALU_DEP_1) | instskip(NEXT) | instid1(VALU_DEP_1)
	v_and_b32_e32 v0, 0xffff, v0
	v_lshlrev_b32_e32 v0, 4, v0
	ds_store_b128 v0, v[60:63]
	ds_store_b128 v0, v[64:67] offset:48
	ds_store_b128 v0, v[152:155] offset:96
	;; [unrolled: 1-line block ×4, first 2 shown]
.LBB0_13:
	s_wait_alu 0xfffe
	s_or_b32 exec_lo, exec_lo, s1
	global_wb scope:SCOPE_SE
	s_wait_dscnt 0x0
	s_barrier_signal -1
	s_barrier_wait -1
	global_inv scope:SCOPE_SE
	s_and_saveexec_b32 s1, s0
	s_cbranch_execz .LBB0_15
; %bb.14:
	ds_load_b128 v[40:43], v244
	ds_load_b128 v[52:55], v244 offset:2160
	ds_load_b128 v[44:47], v244 offset:4320
	;; [unrolled: 1-line block ×10, first 2 shown]
.LBB0_15:
	s_wait_alu 0xfffe
	s_or_b32 exec_lo, exec_lo, s1
	global_wb scope:SCOPE_SE
	s_wait_dscnt 0x0
	s_barrier_signal -1
	s_barrier_wait -1
	global_inv scope:SCOPE_SE
	s_and_saveexec_b32 s30, s0
	s_cbranch_execz .LBB0_17
; %bb.16:
	v_mul_f64_e32 v[0:1], v[38:39], v[52:53]
	s_mov_b32 s25, 0x3fed1bb4
	s_mov_b32 s24, 0x8eee2c13
	;; [unrolled: 1-line block ×11, first 2 shown]
	s_wait_alu 0xfffe
	s_mov_b32 s26, s16
	s_mov_b32 s0, 0x640f44db
	;; [unrolled: 1-line block ×15, first 2 shown]
	s_delay_alu instid0(VALU_DEP_1) | instskip(SKIP_1) | instid1(VALU_DEP_1)
	v_fma_f64 v[160:161], v[36:37], v[54:55], -v[0:1]
	v_mul_f64_e32 v[0:1], v[38:39], v[54:55]
	v_fma_f64 v[162:163], v[36:37], v[52:53], v[0:1]
	v_mul_f64_e32 v[0:1], v[102:103], v[62:63]
	s_delay_alu instid0(VALU_DEP_1) | instskip(SKIP_1) | instid1(VALU_DEP_1)
	v_fma_f64 v[36:37], v[100:101], v[60:61], v[0:1]
	v_mul_f64_e32 v[0:1], v[102:103], v[60:61]
	v_fma_f64 v[52:53], v[100:101], v[62:63], -v[0:1]
	v_mul_f64_e32 v[0:1], v[106:107], v[66:67]
	s_delay_alu instid0(VALU_DEP_1) | instskip(SKIP_1) | instid1(VALU_DEP_2)
	v_fma_f64 v[38:39], v[104:105], v[64:65], v[0:1]
	v_mul_f64_e32 v[0:1], v[106:107], v[64:65]
	v_add_f64_e64 v[4:5], v[36:37], -v[38:39]
	s_delay_alu instid0(VALU_DEP_2) | instskip(SKIP_2) | instid1(VALU_DEP_4)
	v_fma_f64 v[54:55], v[104:105], v[66:67], -v[0:1]
	v_mul_f64_e32 v[0:1], v[94:95], v[58:59]
	v_add_f64_e32 v[190:191], v[36:37], v[38:39]
	v_mul_f64_e32 v[16:17], s[24:25], v[4:5]
	s_delay_alu instid0(VALU_DEP_4) | instskip(NEXT) | instid1(VALU_DEP_4)
	v_add_f64_e64 v[6:7], v[52:53], -v[54:55]
	v_fma_f64 v[60:61], v[92:93], v[56:57], v[0:1]
	v_mul_f64_e32 v[0:1], v[94:95], v[56:57]
	v_add_f64_e32 v[188:189], v[52:53], v[54:55]
	s_delay_alu instid0(VALU_DEP_4) | instskip(NEXT) | instid1(VALU_DEP_3)
	v_mul_f64_e32 v[18:19], s[24:25], v[6:7]
	v_fma_f64 v[62:63], v[92:93], v[58:59], -v[0:1]
	v_mul_f64_e32 v[0:1], v[98:99], v[154:155]
	s_delay_alu instid0(VALU_DEP_1) | instskip(SKIP_1) | instid1(VALU_DEP_2)
	v_fma_f64 v[56:57], v[96:97], v[152:153], v[0:1]
	v_mul_f64_e32 v[0:1], v[98:99], v[152:153]
	v_add_f64_e32 v[186:187], v[60:61], v[56:57]
	s_delay_alu instid0(VALU_DEP_2) | instskip(SKIP_1) | instid1(VALU_DEP_2)
	v_fma_f64 v[58:59], v[96:97], v[154:155], -v[0:1]
	v_mul_f64_e32 v[0:1], v[86:87], v[50:51]
	v_add_f64_e64 v[2:3], v[62:63], -v[58:59]
	s_delay_alu instid0(VALU_DEP_2) | instskip(SKIP_2) | instid1(VALU_DEP_4)
	v_fma_f64 v[64:65], v[84:85], v[48:49], v[0:1]
	v_mul_f64_e32 v[0:1], v[86:87], v[48:49]
	v_add_f64_e32 v[184:185], v[62:63], v[58:59]
	v_mul_f64_e32 v[14:15], s[24:25], v[2:3]
	s_delay_alu instid0(VALU_DEP_3) | instskip(SKIP_1) | instid1(VALU_DEP_1)
	v_fma_f64 v[66:67], v[84:85], v[50:51], -v[0:1]
	v_mul_f64_e32 v[0:1], v[90:91], v[70:71]
	v_fma_f64 v[48:49], v[88:89], v[68:69], v[0:1]
	v_mul_f64_e32 v[0:1], v[90:91], v[68:69]
	s_delay_alu instid0(VALU_DEP_2) | instskip(NEXT) | instid1(VALU_DEP_2)
	v_add_f64_e64 v[8:9], v[64:65], -v[48:49]
	v_fma_f64 v[50:51], v[88:89], v[70:71], -v[0:1]
	v_mul_f64_e32 v[0:1], v[78:79], v[46:47]
	v_add_f64_e32 v[182:183], v[64:65], v[48:49]
	s_delay_alu instid0(VALU_DEP_4) | instskip(NEXT) | instid1(VALU_DEP_4)
	v_mul_f64_e32 v[20:21], s[24:25], v[8:9]
	v_add_f64_e64 v[10:11], v[66:67], -v[50:51]
	s_delay_alu instid0(VALU_DEP_4) | instskip(SKIP_2) | instid1(VALU_DEP_4)
	v_fma_f64 v[84:85], v[76:77], v[44:45], v[0:1]
	v_mul_f64_e32 v[0:1], v[78:79], v[44:45]
	v_add_f64_e32 v[180:181], v[66:67], v[50:51]
	v_mul_f64_e32 v[22:23], s[24:25], v[10:11]
	s_delay_alu instid0(VALU_DEP_3) | instskip(SKIP_1) | instid1(VALU_DEP_1)
	v_fma_f64 v[76:77], v[76:77], v[46:47], -v[0:1]
	v_mul_f64_e32 v[0:1], v[82:83], v[158:159]
	v_fma_f64 v[44:45], v[80:81], v[156:157], v[0:1]
	v_mul_f64_e32 v[0:1], v[82:83], v[156:157]
	s_delay_alu instid0(VALU_DEP_2) | instskip(NEXT) | instid1(VALU_DEP_2)
	v_add_f64_e64 v[172:173], v[84:85], -v[44:45]
	v_fma_f64 v[68:69], v[80:81], v[158:159], -v[0:1]
	v_mul_f64_e32 v[0:1], v[74:75], v[122:123]
	v_add_f64_e32 v[158:159], v[40:41], v[162:163]
	v_add_f64_e32 v[178:179], v[84:85], v[44:45]
	s_delay_alu instid0(VALU_DEP_4) | instskip(NEXT) | instid1(VALU_DEP_4)
	v_add_f64_e32 v[174:175], v[76:77], v[68:69]
	v_fma_f64 v[46:47], v[72:73], v[120:121], v[0:1]
	v_mul_f64_e32 v[0:1], v[74:75], v[120:121]
	v_add_f64_e64 v[176:177], v[76:77], -v[68:69]
	s_delay_alu instid0(VALU_DEP_3) | instskip(NEXT) | instid1(VALU_DEP_3)
	v_add_f64_e32 v[106:107], v[162:163], v[46:47]
	v_fma_f64 v[70:71], v[72:73], v[122:123], -v[0:1]
	v_add_f64_e64 v[0:1], v[60:61], -v[56:57]
	v_add_f64_e64 v[72:73], v[162:163], -v[46:47]
	s_delay_alu instid0(VALU_DEP_3) | instskip(NEXT) | instid1(VALU_DEP_3)
	v_add_f64_e32 v[86:87], v[160:161], v[70:71]
	v_mul_f64_e32 v[12:13], s[24:25], v[0:1]
	s_mov_b32 s25, 0xbfed1bb4
	s_delay_alu instid0(VALU_DEP_3)
	v_mul_f64_e32 v[74:75], s[22:23], v[72:73]
	v_mul_f64_e32 v[78:79], s[18:19], v[72:73]
	;; [unrolled: 1-line block ×3, first 2 shown]
	s_wait_alu 0xfffe
	v_mul_f64_e32 v[82:83], s[26:27], v[72:73]
	v_mul_f64_e32 v[72:73], s[24:25], v[72:73]
	v_fma_f64 v[88:89], v[86:87], s[12:13], v[74:75]
	v_fma_f64 v[74:75], v[86:87], s[12:13], -v[74:75]
	v_fma_f64 v[90:91], v[86:87], s[10:11], v[78:79]
	v_fma_f64 v[78:79], v[86:87], s[10:11], -v[78:79]
	;; [unrolled: 2-line block ×4, first 2 shown]
	v_fma_f64 v[96:97], v[86:87], s[8:9], -v[72:73]
	v_fma_f64 v[72:73], v[86:87], s[8:9], v[72:73]
	v_add_f64_e64 v[86:87], v[160:161], -v[70:71]
	v_add_f64_e32 v[88:89], v[42:43], v[88:89]
	v_add_f64_e32 v[74:75], v[42:43], v[74:75]
	;; [unrolled: 1-line block ×5, first 2 shown]
	v_mul_f64_e32 v[80:81], s[18:19], v[8:9]
	v_add_f64_e32 v[164:165], v[42:43], v[94:95]
	v_add_f64_e32 v[82:83], v[42:43], v[82:83]
	v_add_f64_e32 v[168:169], v[42:43], v[72:73]
	v_mul_f64_e32 v[98:99], s[22:23], v[86:87]
	v_mul_f64_e32 v[100:101], s[18:19], v[86:87]
	;; [unrolled: 1-line block ×7, first 2 shown]
	v_fma_f64 v[120:121], v[106:107], s[12:13], -v[98:99]
	v_fma_f64 v[98:99], v[106:107], s[12:13], v[98:99]
	v_fma_f64 v[122:123], v[106:107], s[10:11], -v[100:101]
	v_fma_f64 v[100:101], v[106:107], s[10:11], v[100:101]
	;; [unrolled: 2-line block ×3, first 2 shown]
	v_fma_f64 v[154:155], v[106:107], s[14:15], v[104:105]
	v_fma_f64 v[104:105], v[106:107], s[14:15], -v[104:105]
	v_fma_f64 v[156:157], v[106:107], s[8:9], v[86:87]
	v_fma_f64 v[86:87], v[106:107], s[8:9], -v[86:87]
	v_add_f64_e32 v[106:107], v[42:43], v[160:161]
	v_add_f64_e32 v[160:161], v[42:43], v[78:79]
	v_mul_f64_e32 v[78:79], s[16:17], v[176:177]
	v_add_f64_e32 v[120:121], v[40:41], v[120:121]
	v_add_f64_e32 v[98:99], v[40:41], v[98:99]
	;; [unrolled: 1-line block ×10, first 2 shown]
	v_fma_f64 v[40:41], v[174:175], s[14:15], v[72:73]
	v_fma_f64 v[86:87], v[180:181], s[10:11], v[80:81]
	v_add_f64_e32 v[104:105], v[42:43], v[96:97]
	v_fma_f64 v[42:43], v[178:179], s[14:15], -v[78:79]
	v_fma_f64 v[72:73], v[174:175], s[14:15], -v[72:73]
	v_mul_f64_e32 v[96:97], s[20:21], v[6:7]
	v_add_f64_e32 v[40:41], v[40:41], v[88:89]
	s_delay_alu instid0(VALU_DEP_4) | instskip(NEXT) | instid1(VALU_DEP_4)
	v_add_f64_e32 v[42:43], v[42:43], v[120:121]
	v_add_f64_e32 v[72:73], v[72:73], v[74:75]
	v_fma_f64 v[74:75], v[178:179], s[14:15], v[78:79]
	v_fma_f64 v[78:79], v[180:181], s[10:11], -v[80:81]
	v_mul_f64_e32 v[120:121], s[18:19], v[176:177]
	v_add_f64_e32 v[40:41], v[86:87], v[40:41]
	v_mul_f64_e32 v[86:87], s[18:19], v[10:11]
	v_add_f64_e32 v[74:75], v[74:75], v[98:99]
	v_add_f64_e32 v[72:73], v[78:79], v[72:73]
	v_mul_f64_e32 v[98:99], s[18:19], v[4:5]
	s_delay_alu instid0(VALU_DEP_4) | instskip(SKIP_2) | instid1(VALU_DEP_3)
	v_fma_f64 v[88:89], v[182:183], s[10:11], -v[86:87]
	v_fma_f64 v[78:79], v[182:183], s[10:11], v[86:87]
	v_mul_f64_e32 v[86:87], s[28:29], v[176:177]
	v_add_f64_e32 v[42:43], v[88:89], v[42:43]
	v_fma_f64 v[88:89], v[184:185], s[8:9], v[12:13]
	v_fma_f64 v[12:13], v[184:185], s[8:9], -v[12:13]
	v_add_f64_e32 v[74:75], v[78:79], v[74:75]
	v_fma_f64 v[78:79], v[190:191], s[0:1], v[96:97]
	s_delay_alu instid0(VALU_DEP_4) | instskip(SKIP_4) | instid1(VALU_DEP_4)
	v_add_f64_e32 v[40:41], v[88:89], v[40:41]
	v_fma_f64 v[88:89], v[186:187], s[8:9], -v[14:15]
	v_add_f64_e32 v[12:13], v[12:13], v[72:73]
	v_fma_f64 v[14:15], v[186:187], s[8:9], v[14:15]
	v_fma_f64 v[72:73], v[188:189], s[0:1], -v[94:95]
	v_add_f64_e32 v[88:89], v[88:89], v[42:43]
	v_fma_f64 v[42:43], v[188:189], s[0:1], v[94:95]
	s_delay_alu instid0(VALU_DEP_4) | instskip(NEXT) | instid1(VALU_DEP_4)
	v_add_f64_e32 v[14:15], v[14:15], v[74:75]
	v_add_f64_e32 v[74:75], v[72:73], v[12:13]
	v_mul_f64_e32 v[12:13], s[28:29], v[172:173]
	v_mul_f64_e32 v[94:95], s[22:23], v[0:1]
	v_add_f64_e32 v[42:43], v[42:43], v[40:41]
	v_fma_f64 v[40:41], v[190:191], s[0:1], -v[96:97]
	v_add_f64_e32 v[72:73], v[78:79], v[14:15]
	v_fma_f64 v[14:15], v[174:175], s[0:1], v[12:13]
	v_fma_f64 v[78:79], v[178:179], s[0:1], -v[86:87]
	v_mul_f64_e32 v[96:97], s[22:23], v[2:3]
	v_fma_f64 v[12:13], v[174:175], s[0:1], -v[12:13]
	v_add_f64_e32 v[40:41], v[40:41], v[88:89]
	v_mul_f64_e32 v[88:89], s[26:27], v[8:9]
	v_add_f64_e32 v[14:15], v[14:15], v[90:91]
	v_mul_f64_e32 v[90:91], s[26:27], v[10:11]
	v_add_f64_e32 v[78:79], v[78:79], v[122:123]
	v_add_f64_e32 v[12:13], v[12:13], v[160:161]
	v_fma_f64 v[80:81], v[180:181], s[14:15], v[88:89]
	s_delay_alu instid0(VALU_DEP_1) | instskip(SKIP_1) | instid1(VALU_DEP_1)
	v_add_f64_e32 v[14:15], v[80:81], v[14:15]
	v_fma_f64 v[80:81], v[182:183], s[14:15], -v[90:91]
	v_add_f64_e32 v[78:79], v[80:81], v[78:79]
	v_fma_f64 v[80:81], v[184:185], s[12:13], v[94:95]
	s_delay_alu instid0(VALU_DEP_1) | instskip(SKIP_1) | instid1(VALU_DEP_1)
	v_add_f64_e32 v[14:15], v[80:81], v[14:15]
	v_fma_f64 v[80:81], v[186:187], s[12:13], -v[96:97]
	v_add_f64_e32 v[78:79], v[80:81], v[78:79]
	v_fma_f64 v[80:81], v[188:189], s[8:9], v[16:17]
	v_fma_f64 v[16:17], v[188:189], s[8:9], -v[16:17]
	s_delay_alu instid0(VALU_DEP_2) | instskip(SKIP_2) | instid1(VALU_DEP_2)
	v_add_f64_e32 v[80:81], v[80:81], v[14:15]
	v_fma_f64 v[14:15], v[190:191], s[8:9], -v[18:19]
	v_fma_f64 v[18:19], v[190:191], s[8:9], v[18:19]
	v_add_f64_e32 v[78:79], v[14:15], v[78:79]
	v_fma_f64 v[14:15], v[178:179], s[0:1], v[86:87]
	v_fma_f64 v[86:87], v[180:181], s[14:15], -v[88:89]
	s_delay_alu instid0(VALU_DEP_2) | instskip(NEXT) | instid1(VALU_DEP_2)
	v_add_f64_e32 v[14:15], v[14:15], v[100:101]
	v_add_f64_e32 v[12:13], v[86:87], v[12:13]
	v_fma_f64 v[86:87], v[182:183], s[14:15], v[90:91]
	v_fma_f64 v[90:91], v[180:181], s[8:9], v[20:21]
	s_delay_alu instid0(VALU_DEP_2) | instskip(SKIP_2) | instid1(VALU_DEP_2)
	v_add_f64_e32 v[14:15], v[86:87], v[14:15]
	v_fma_f64 v[86:87], v[184:185], s[12:13], -v[94:95]
	v_mul_f64_e32 v[94:95], s[26:27], v[0:1]
	v_add_f64_e32 v[12:13], v[86:87], v[12:13]
	v_fma_f64 v[86:87], v[186:187], s[12:13], v[96:97]
	v_mul_f64_e32 v[96:97], s[26:27], v[2:3]
	s_delay_alu instid0(VALU_DEP_3) | instskip(NEXT) | instid1(VALU_DEP_3)
	v_add_f64_e32 v[88:89], v[16:17], v[12:13]
	v_add_f64_e32 v[14:15], v[86:87], v[14:15]
	v_mul_f64_e32 v[12:13], s[34:35], v[172:173]
	v_mul_f64_e32 v[16:17], s[34:35], v[176:177]
	s_delay_alu instid0(VALU_DEP_3) | instskip(NEXT) | instid1(VALU_DEP_3)
	v_add_f64_e32 v[86:87], v[18:19], v[14:15]
	v_fma_f64 v[14:15], v[174:175], s[12:13], v[12:13]
	s_delay_alu instid0(VALU_DEP_3) | instskip(SKIP_2) | instid1(VALU_DEP_4)
	v_fma_f64 v[18:19], v[178:179], s[12:13], -v[16:17]
	v_fma_f64 v[12:13], v[174:175], s[12:13], -v[12:13]
	v_fma_f64 v[16:17], v[178:179], s[12:13], v[16:17]
	v_add_f64_e32 v[14:15], v[14:15], v[92:93]
	s_delay_alu instid0(VALU_DEP_4) | instskip(NEXT) | instid1(VALU_DEP_4)
	v_add_f64_e32 v[18:19], v[18:19], v[152:153]
	v_add_f64_e32 v[12:13], v[12:13], v[162:163]
	s_delay_alu instid0(VALU_DEP_4) | instskip(SKIP_4) | instid1(VALU_DEP_1)
	v_add_f64_e32 v[16:17], v[16:17], v[102:103]
	v_mul_f64_e32 v[152:153], s[18:19], v[2:3]
	v_mul_f64_e32 v[2:3], s[28:29], v[2:3]
	v_add_f64_e32 v[14:15], v[90:91], v[14:15]
	v_fma_f64 v[90:91], v[182:183], s[8:9], -v[22:23]
	v_add_f64_e32 v[18:19], v[90:91], v[18:19]
	v_fma_f64 v[90:91], v[184:185], s[14:15], v[94:95]
	s_delay_alu instid0(VALU_DEP_1) | instskip(SKIP_1) | instid1(VALU_DEP_1)
	v_add_f64_e32 v[14:15], v[90:91], v[14:15]
	v_fma_f64 v[90:91], v[186:187], s[14:15], -v[96:97]
	v_add_f64_e32 v[18:19], v[90:91], v[18:19]
	v_fma_f64 v[90:91], v[188:189], s[10:11], v[98:99]
	s_delay_alu instid0(VALU_DEP_1) | instskip(SKIP_1) | instid1(VALU_DEP_1)
	v_add_f64_e32 v[92:93], v[90:91], v[14:15]
	v_mul_f64_e32 v[14:15], s[18:19], v[6:7]
	v_fma_f64 v[90:91], v[190:191], s[10:11], -v[14:15]
	v_fma_f64 v[14:15], v[190:191], s[10:11], v[14:15]
	s_delay_alu instid0(VALU_DEP_2) | instskip(SKIP_3) | instid1(VALU_DEP_3)
	v_add_f64_e32 v[90:91], v[90:91], v[18:19]
	v_fma_f64 v[18:19], v[180:181], s[8:9], -v[20:21]
	v_mul_f64_e32 v[20:21], s[20:21], v[8:9]
	v_mul_f64_e32 v[8:9], s[34:35], v[8:9]
	v_add_f64_e32 v[12:13], v[18:19], v[12:13]
	v_fma_f64 v[18:19], v[182:183], s[8:9], v[22:23]
	s_delay_alu instid0(VALU_DEP_4) | instskip(NEXT) | instid1(VALU_DEP_4)
	v_fma_f64 v[22:23], v[180:181], s[0:1], -v[20:21]
	v_fma_f64 v[122:123], v[180:181], s[12:13], -v[8:9]
	v_fma_f64 v[8:9], v[180:181], s[12:13], v[8:9]
	s_delay_alu instid0(VALU_DEP_4) | instskip(SKIP_1) | instid1(VALU_DEP_1)
	v_add_f64_e32 v[16:17], v[18:19], v[16:17]
	v_fma_f64 v[18:19], v[184:185], s[14:15], -v[94:95]
	v_add_f64_e32 v[12:13], v[18:19], v[12:13]
	v_fma_f64 v[18:19], v[186:187], s[14:15], v[96:97]
	s_delay_alu instid0(VALU_DEP_1) | instskip(SKIP_1) | instid1(VALU_DEP_2)
	v_add_f64_e32 v[16:17], v[18:19], v[16:17]
	v_fma_f64 v[18:19], v[188:189], s[10:11], -v[98:99]
	v_add_f64_e32 v[94:95], v[14:15], v[16:17]
	s_delay_alu instid0(VALU_DEP_2) | instskip(SKIP_2) | instid1(VALU_DEP_2)
	v_add_f64_e32 v[96:97], v[18:19], v[12:13]
	v_mul_f64_e32 v[12:13], s[24:25], v[172:173]
	v_mul_f64_e32 v[16:17], s[24:25], v[176:177]
	v_fma_f64 v[14:15], v[174:175], s[8:9], -v[12:13]
	s_delay_alu instid0(VALU_DEP_2) | instskip(NEXT) | instid1(VALU_DEP_2)
	v_fma_f64 v[18:19], v[178:179], s[8:9], v[16:17]
	v_add_f64_e32 v[14:15], v[14:15], v[82:83]
	s_delay_alu instid0(VALU_DEP_2) | instskip(SKIP_2) | instid1(VALU_DEP_4)
	v_add_f64_e32 v[18:19], v[18:19], v[154:155]
	v_mul_f64_e32 v[154:155], s[22:23], v[4:5]
	v_mul_f64_e32 v[4:5], s[16:17], v[4:5]
	v_add_f64_e32 v[14:15], v[22:23], v[14:15]
	v_mul_f64_e32 v[22:23], s[20:21], v[10:11]
	v_mul_f64_e32 v[10:11], s[34:35], v[10:11]
	s_delay_alu instid0(VALU_DEP_2) | instskip(NEXT) | instid1(VALU_DEP_1)
	v_fma_f64 v[82:83], v[182:183], s[0:1], v[22:23]
	v_add_f64_e32 v[18:19], v[82:83], v[18:19]
	v_mul_f64_e32 v[82:83], s[18:19], v[0:1]
	v_mul_f64_e32 v[0:1], s[28:29], v[0:1]
	s_delay_alu instid0(VALU_DEP_2) | instskip(NEXT) | instid1(VALU_DEP_1)
	v_fma_f64 v[98:99], v[184:185], s[10:11], -v[82:83]
	v_add_f64_e32 v[14:15], v[98:99], v[14:15]
	v_fma_f64 v[98:99], v[186:187], s[10:11], v[152:153]
	s_delay_alu instid0(VALU_DEP_1) | instskip(SKIP_1) | instid1(VALU_DEP_1)
	v_add_f64_e32 v[18:19], v[98:99], v[18:19]
	v_fma_f64 v[98:99], v[188:189], s[12:13], -v[154:155]
	v_add_f64_e32 v[100:101], v[98:99], v[14:15]
	v_mul_f64_e32 v[14:15], s[22:23], v[6:7]
	v_mul_f64_e32 v[6:7], s[16:17], v[6:7]
	s_delay_alu instid0(VALU_DEP_2) | instskip(NEXT) | instid1(VALU_DEP_1)
	v_fma_f64 v[98:99], v[190:191], s[12:13], v[14:15]
	v_add_f64_e32 v[98:99], v[98:99], v[18:19]
	v_mul_f64_e32 v[18:19], s[18:19], v[172:173]
	s_delay_alu instid0(VALU_DEP_1) | instskip(SKIP_1) | instid1(VALU_DEP_2)
	v_fma_f64 v[102:103], v[174:175], s[10:11], -v[18:19]
	v_fma_f64 v[18:19], v[174:175], s[10:11], v[18:19]
	v_add_f64_e32 v[102:103], v[102:103], v[104:105]
	v_fma_f64 v[104:105], v[178:179], s[10:11], v[120:121]
	v_fma_f64 v[120:121], v[178:179], s[10:11], -v[120:121]
	s_delay_alu instid0(VALU_DEP_4) | instskip(NEXT) | instid1(VALU_DEP_4)
	v_add_f64_e32 v[18:19], v[18:19], v[168:169]
	v_add_f64_e32 v[102:103], v[122:123], v[102:103]
	s_delay_alu instid0(VALU_DEP_4) | instskip(SKIP_4) | instid1(VALU_DEP_4)
	v_add_f64_e32 v[104:105], v[104:105], v[156:157]
	v_fma_f64 v[122:123], v[182:183], s[12:13], v[10:11]
	v_add_f64_e32 v[120:121], v[120:121], v[170:171]
	v_fma_f64 v[10:11], v[182:183], s[12:13], -v[10:11]
	v_add_f64_e32 v[8:9], v[8:9], v[18:19]
	v_add_f64_e32 v[104:105], v[122:123], v[104:105]
	v_fma_f64 v[122:123], v[184:185], s[0:1], -v[0:1]
	s_delay_alu instid0(VALU_DEP_4) | instskip(SKIP_1) | instid1(VALU_DEP_3)
	v_add_f64_e32 v[10:11], v[10:11], v[120:121]
	v_fma_f64 v[0:1], v[184:185], s[0:1], v[0:1]
	v_add_f64_e32 v[102:103], v[122:123], v[102:103]
	v_fma_f64 v[122:123], v[186:187], s[0:1], v[2:3]
	v_fma_f64 v[2:3], v[186:187], s[0:1], -v[2:3]
	s_delay_alu instid0(VALU_DEP_4) | instskip(SKIP_1) | instid1(VALU_DEP_4)
	v_add_f64_e32 v[0:1], v[0:1], v[8:9]
	v_fma_f64 v[8:9], v[184:185], s[10:11], v[82:83]
	v_add_f64_e32 v[122:123], v[122:123], v[104:105]
	v_fma_f64 v[104:105], v[188:189], s[14:15], -v[4:5]
	v_add_f64_e32 v[2:3], v[2:3], v[10:11]
	v_fma_f64 v[4:5], v[188:189], s[14:15], v[4:5]
	v_fma_f64 v[10:11], v[186:187], s[10:11], -v[152:153]
	s_delay_alu instid0(VALU_DEP_4) | instskip(SKIP_2) | instid1(VALU_DEP_2)
	v_add_f64_e32 v[104:105], v[104:105], v[102:103]
	v_fma_f64 v[102:103], v[190:191], s[14:15], v[6:7]
	v_fma_f64 v[6:7], v[190:191], s[14:15], -v[6:7]
	v_add_f64_e32 v[102:103], v[102:103], v[122:123]
	v_add_f64_e32 v[122:123], v[4:5], v[0:1]
	s_delay_alu instid0(VALU_DEP_3) | instskip(SKIP_4) | instid1(VALU_DEP_4)
	v_add_f64_e32 v[120:121], v[6:7], v[2:3]
	v_add_f64_e32 v[0:1], v[106:107], v[76:77]
	;; [unrolled: 1-line block ×3, first 2 shown]
	v_fma_f64 v[4:5], v[180:181], s[0:1], v[20:21]
	v_fma_f64 v[6:7], v[182:183], s[0:1], -v[22:23]
	v_add_f64_e32 v[0:1], v[0:1], v[66:67]
	s_delay_alu instid0(VALU_DEP_4) | instskip(NEXT) | instid1(VALU_DEP_2)
	v_add_f64_e32 v[2:3], v[2:3], v[64:65]
	v_add_f64_e32 v[0:1], v[0:1], v[62:63]
	s_delay_alu instid0(VALU_DEP_2) | instskip(NEXT) | instid1(VALU_DEP_2)
	v_add_f64_e32 v[2:3], v[2:3], v[60:61]
	v_add_f64_e32 v[0:1], v[0:1], v[52:53]
	s_delay_alu instid0(VALU_DEP_2) | instskip(NEXT) | instid1(VALU_DEP_2)
	;; [unrolled: 3-line block ×6, first 2 shown]
	v_add_f64_e32 v[2:3], v[2:3], v[44:45]
	v_add_f64_e32 v[38:39], v[0:1], v[70:71]
	s_delay_alu instid0(VALU_DEP_2) | instskip(SKIP_2) | instid1(VALU_DEP_2)
	v_add_f64_e32 v[36:37], v[2:3], v[46:47]
	v_fma_f64 v[0:1], v[174:175], s[8:9], v[12:13]
	v_fma_f64 v[2:3], v[178:179], s[8:9], -v[16:17]
	v_add_f64_e32 v[0:1], v[0:1], v[164:165]
	s_delay_alu instid0(VALU_DEP_2) | instskip(NEXT) | instid1(VALU_DEP_2)
	v_add_f64_e32 v[2:3], v[2:3], v[166:167]
	v_add_f64_e32 v[0:1], v[4:5], v[0:1]
	s_delay_alu instid0(VALU_DEP_2) | instskip(SKIP_2) | instid1(VALU_DEP_4)
	v_add_f64_e32 v[2:3], v[6:7], v[2:3]
	v_fma_f64 v[4:5], v[188:189], s[12:13], v[154:155]
	v_fma_f64 v[6:7], v[190:191], s[12:13], -v[14:15]
	v_add_f64_e32 v[0:1], v[8:9], v[0:1]
	s_delay_alu instid0(VALU_DEP_4) | instskip(NEXT) | instid1(VALU_DEP_2)
	v_add_f64_e32 v[2:3], v[10:11], v[2:3]
	v_add_f64_e32 v[46:47], v[4:5], v[0:1]
	s_delay_alu instid0(VALU_DEP_2) | instskip(SKIP_1) | instid1(VALU_DEP_1)
	v_add_f64_e32 v[44:45], v[6:7], v[2:3]
	v_mul_u32_u24_e32 v0, 0xa5, v26
	v_add_lshl_u32 v0, v0, v25, 4
	ds_store_b128 v0, v[86:89] offset:960
	ds_store_b128 v0, v[72:75] offset:1200
	;; [unrolled: 1-line block ×9, first 2 shown]
	ds_store_b128 v0, v[36:39]
	ds_store_b128 v0, v[44:47] offset:2400
.LBB0_17:
	s_wait_alu 0xfffe
	s_or_b32 exec_lo, exec_lo, s30
	global_wb scope:SCOPE_SE
	s_wait_dscnt 0x0
	s_barrier_signal -1
	s_barrier_wait -1
	global_inv scope:SCOPE_SE
	ds_load_b128 v[36:39], v244 offset:7920
	ds_load_b128 v[40:43], v244 offset:15840
	ds_load_b128 v[44:47], v244 offset:10560
	ds_load_b128 v[48:51], v244 offset:18480
	ds_load_b128 v[52:55], v244 offset:13200
	ds_load_b128 v[56:59], v244 offset:21120
	ds_load_b128 v[60:63], v244 offset:5280
	s_mov_b32 s0, 0xe8584caa
	s_mov_b32 s1, 0xbfebb67a
	;; [unrolled: 1-line block ×3, first 2 shown]
	s_wait_alu 0xfffe
	s_mov_b32 s8, s0
	s_wait_dscnt 0x6
	v_mul_f64_e32 v[0:1], v[114:115], v[38:39]
	s_wait_dscnt 0x5
	v_mul_f64_e32 v[2:3], v[110:111], v[42:43]
	v_mul_f64_e32 v[4:5], v[114:115], v[36:37]
	v_mul_f64_e32 v[6:7], v[110:111], v[40:41]
	s_wait_dscnt 0x4
	v_mul_f64_e32 v[8:9], v[114:115], v[46:47]
	s_wait_dscnt 0x3
	v_mul_f64_e32 v[10:11], v[110:111], v[50:51]
	v_mul_f64_e32 v[12:13], v[114:115], v[44:45]
	v_mul_f64_e32 v[14:15], v[110:111], v[48:49]
	;; [unrolled: 6-line block ×3, first 2 shown]
	v_fma_f64 v[0:1], v[112:113], v[36:37], v[0:1]
	v_fma_f64 v[2:3], v[108:109], v[40:41], v[2:3]
	v_fma_f64 v[4:5], v[112:113], v[38:39], -v[4:5]
	v_fma_f64 v[6:7], v[108:109], v[42:43], -v[6:7]
	v_fma_f64 v[8:9], v[112:113], v[44:45], v[8:9]
	v_fma_f64 v[10:11], v[108:109], v[48:49], v[10:11]
	v_fma_f64 v[12:13], v[112:113], v[46:47], -v[12:13]
	v_fma_f64 v[14:15], v[108:109], v[50:51], -v[14:15]
	;; [unrolled: 4-line block ×3, first 2 shown]
	ds_load_b128 v[36:39], v244
	ds_load_b128 v[40:43], v244 offset:2640
	global_wb scope:SCOPE_SE
	s_wait_dscnt 0x0
	s_barrier_signal -1
	s_barrier_wait -1
	global_inv scope:SCOPE_SE
	v_add_f64_e32 v[56:57], v[36:37], v[0:1]
	v_add_f64_e32 v[44:45], v[0:1], v[2:3]
	v_add_f64_e64 v[0:1], v[0:1], -v[2:3]
	v_add_f64_e32 v[46:47], v[4:5], v[6:7]
	v_add_f64_e64 v[58:59], v[4:5], -v[6:7]
	v_add_f64_e32 v[48:49], v[8:9], v[10:11]
	v_add_f64_e32 v[4:5], v[38:39], v[4:5]
	v_add_f64_e32 v[50:51], v[12:13], v[14:15]
	v_add_f64_e32 v[64:65], v[40:41], v[8:9]
	v_add_f64_e32 v[52:53], v[16:17], v[18:19]
	v_add_f64_e32 v[66:67], v[42:43], v[12:13]
	v_add_f64_e32 v[54:55], v[20:21], v[22:23]
	v_add_f64_e64 v[12:13], v[12:13], -v[14:15]
	v_add_f64_e64 v[8:9], v[8:9], -v[10:11]
	v_add_f64_e32 v[68:69], v[60:61], v[16:17]
	v_add_f64_e32 v[70:71], v[62:63], v[20:21]
	v_add_f64_e64 v[20:21], v[20:21], -v[22:23]
	v_add_f64_e64 v[16:17], v[16:17], -v[18:19]
	v_fma_f64 v[72:73], v[44:45], -0.5, v[36:37]
	v_add_f64_e32 v[36:37], v[56:57], v[2:3]
	v_fma_f64 v[74:75], v[46:47], -0.5, v[38:39]
	v_fma_f64 v[76:77], v[48:49], -0.5, v[40:41]
	v_add_f64_e32 v[38:39], v[4:5], v[6:7]
	v_fma_f64 v[78:79], v[50:51], -0.5, v[42:43]
	v_add_f64_e32 v[40:41], v[64:65], v[10:11]
	;; [unrolled: 2-line block ×4, first 2 shown]
	v_add_f64_e32 v[46:47], v[70:71], v[22:23]
	v_fma_f64 v[48:49], v[58:59], s[0:1], v[72:73]
	s_wait_alu 0xfffe
	v_fma_f64 v[52:53], v[58:59], s[8:9], v[72:73]
	v_fma_f64 v[50:51], v[0:1], s[8:9], v[74:75]
	;; [unrolled: 1-line block ×11, first 2 shown]
	ds_store_b128 v244, v[36:39]
	ds_store_b128 v244, v[48:51] offset:2640
	ds_store_b128 v244, v[52:55] offset:5280
	;; [unrolled: 1-line block ×8, first 2 shown]
	global_wb scope:SCOPE_SE
	s_wait_dscnt 0x0
	s_barrier_signal -1
	s_barrier_wait -1
	global_inv scope:SCOPE_SE
	ds_load_b128 v[36:39], v244 offset:7920
	ds_load_b128 v[40:43], v244 offset:15840
	;; [unrolled: 1-line block ×7, first 2 shown]
	s_wait_dscnt 0x6
	v_mul_f64_e32 v[0:1], v[118:119], v[38:39]
	s_wait_dscnt 0x5
	v_mul_f64_e32 v[2:3], v[134:135], v[42:43]
	v_mul_f64_e32 v[4:5], v[118:119], v[36:37]
	v_mul_f64_e32 v[6:7], v[134:135], v[40:41]
	s_wait_dscnt 0x4
	v_mul_f64_e32 v[8:9], v[142:143], v[46:47]
	s_wait_dscnt 0x3
	v_mul_f64_e32 v[10:11], v[138:139], v[50:51]
	v_mul_f64_e32 v[12:13], v[142:143], v[44:45]
	v_mul_f64_e32 v[14:15], v[138:139], v[48:49]
	;; [unrolled: 6-line block ×3, first 2 shown]
	v_fma_f64 v[0:1], v[116:117], v[36:37], v[0:1]
	v_fma_f64 v[2:3], v[132:133], v[40:41], v[2:3]
	v_fma_f64 v[4:5], v[116:117], v[38:39], -v[4:5]
	v_fma_f64 v[6:7], v[132:133], v[42:43], -v[6:7]
	v_fma_f64 v[8:9], v[140:141], v[44:45], v[8:9]
	v_fma_f64 v[10:11], v[136:137], v[48:49], v[10:11]
	v_fma_f64 v[12:13], v[140:141], v[46:47], -v[12:13]
	v_fma_f64 v[14:15], v[136:137], v[50:51], -v[14:15]
	;; [unrolled: 4-line block ×3, first 2 shown]
	ds_load_b128 v[36:39], v244
	ds_load_b128 v[40:43], v244 offset:2640
	s_wait_dscnt 0x1
	v_add_f64_e32 v[56:57], v[36:37], v[0:1]
	v_add_f64_e32 v[44:45], v[0:1], v[2:3]
	v_add_f64_e64 v[0:1], v[0:1], -v[2:3]
	v_add_f64_e32 v[46:47], v[4:5], v[6:7]
	v_add_f64_e64 v[58:59], v[4:5], -v[6:7]
	v_add_f64_e32 v[48:49], v[8:9], v[10:11]
	v_add_f64_e32 v[4:5], v[38:39], v[4:5]
	;; [unrolled: 1-line block ×3, first 2 shown]
	s_wait_dscnt 0x0
	v_add_f64_e32 v[64:65], v[40:41], v[8:9]
	v_add_f64_e32 v[52:53], v[16:17], v[18:19]
	;; [unrolled: 1-line block ×4, first 2 shown]
	v_add_f64_e64 v[12:13], v[12:13], -v[14:15]
	v_add_f64_e64 v[8:9], v[8:9], -v[10:11]
	v_add_f64_e32 v[68:69], v[60:61], v[16:17]
	v_add_f64_e32 v[70:71], v[62:63], v[20:21]
	v_add_f64_e64 v[20:21], v[20:21], -v[22:23]
	v_add_f64_e64 v[16:17], v[16:17], -v[18:19]
	v_fma_f64 v[72:73], v[44:45], -0.5, v[36:37]
	v_add_f64_e32 v[36:37], v[56:57], v[2:3]
	v_fma_f64 v[74:75], v[46:47], -0.5, v[38:39]
	v_mad_co_u64_u32 v[2:3], null, s4, v243, 0
	v_fma_f64 v[76:77], v[48:49], -0.5, v[40:41]
	v_fma_f64 v[78:79], v[50:51], -0.5, v[42:43]
	v_add_f64_e32 v[38:39], v[4:5], v[6:7]
	v_fma_f64 v[80:81], v[52:53], -0.5, v[60:61]
	v_add_f64_e32 v[40:41], v[64:65], v[10:11]
	v_fma_f64 v[82:83], v[54:55], -0.5, v[62:63]
	v_add_f64_e32 v[42:43], v[66:67], v[14:15]
	v_add_f64_e32 v[44:45], v[68:69], v[18:19]
	v_add_f64_e32 v[46:47], v[70:71], v[22:23]
	v_fma_f64 v[52:53], v[58:59], s[8:9], v[72:73]
	v_fma_f64 v[48:49], v[58:59], s[0:1], v[72:73]
	;; [unrolled: 1-line block ×4, first 2 shown]
	v_mad_co_u64_u32 v[0:1], null, s6, v249, 0
	v_fma_f64 v[60:61], v[12:13], s[8:9], v[76:77]
	v_fma_f64 v[62:63], v[8:9], s[0:1], v[78:79]
	;; [unrolled: 1-line block ×8, first 2 shown]
	v_mad_co_u64_u32 v[4:5], null, s7, v249, v[1:2]
	s_mul_u64 s[0:1], s[4:5], 0x1ef0
	ds_store_b128 v244, v[36:39]
	ds_store_b128 v244, v[40:43] offset:2640
	ds_store_b128 v244, v[52:55] offset:15840
	;; [unrolled: 1-line block ×8, first 2 shown]
	global_wb scope:SCOPE_SE
	s_wait_dscnt 0x0
	s_barrier_signal -1
	s_barrier_wait -1
	global_inv scope:SCOPE_SE
	ds_load_b128 v[36:39], v244
	ds_load_b128 v[40:43], v244 offset:7920
	ds_load_b128 v[44:47], v244 offset:15840
	;; [unrolled: 1-line block ×8, first 2 shown]
	s_clause 0x1
	scratch_load_b128 v[90:93], off, off offset:32 th:TH_LOAD_LU
	scratch_load_b128 v[98:101], off, off offset:80 th:TH_LOAD_LU
	v_mad_co_u64_u32 v[5:6], null, s5, v243, v[3:4]
	s_clause 0x2
	scratch_load_b128 v[102:105], off, off offset:96 th:TH_LOAD_LU
	scratch_load_b128 v[86:89], off, off offset:16 th:TH_LOAD_LU
	scratch_load_b128 v[24:27], off, off th:TH_LOAD_LU
	v_mov_b32_e32 v1, v4
	scratch_load_b128 v[28:31], off, off offset:112 th:TH_LOAD_LU ; 16-byte Folded Reload
	v_mov_b32_e32 v3, v5
	v_lshlrev_b64_e32 v[0:1], 4, v[0:1]
	s_delay_alu instid0(VALU_DEP_2) | instskip(NEXT) | instid1(VALU_DEP_2)
	v_lshlrev_b64_e32 v[2:3], 4, v[2:3]
	v_add_co_u32 v0, vcc_lo, s2, v0
	s_wait_dscnt 0x0
	v_mul_f64_e32 v[82:83], v[34:35], v[70:71]
	v_mul_f64_e32 v[34:35], v[34:35], v[68:69]
	s_wait_alu 0xfffd
	v_add_co_ci_u32_e32 v1, vcc_lo, s3, v1, vcc_lo
	v_add_co_u32 v84, vcc_lo, v0, v2
	s_mul_i32 s2, s5, 0xffffcc70
	s_wait_alu 0xfffd
	s_delay_alu instid0(VALU_DEP_2) | instskip(SKIP_4) | instid1(VALU_DEP_4)
	v_add_co_ci_u32_e32 v85, vcc_lo, v1, v3, vcc_lo
	s_wait_alu 0xfffe
	s_sub_co_i32 s5, s2, s4
	s_mov_b32 s2, 0xef473283
	s_mov_b32 s3, 0x3f4610e4
	v_fma_f64 v[34:35], v[32:33], v[70:71], -v[34:35]
	s_wait_alu 0xfffe
	s_delay_alu instid0(VALU_DEP_1)
	v_mul_f64_e32 v[34:35], s[2:3], v[34:35]
	s_wait_loadcnt 0x5
	v_mul_f64_e32 v[6:7], v[92:93], v[38:39]
	v_mul_f64_e32 v[8:9], v[92:93], v[36:37]
	scratch_load_b128 v[92:95], off, off offset:48 th:TH_LOAD_LU ; 16-byte Folded Reload
	s_wait_loadcnt 0x5
	v_mul_f64_e32 v[14:15], v[100:101], v[46:47]
	s_wait_loadcnt 0x4
	v_mul_f64_e32 v[10:11], v[104:105], v[42:43]
	v_mul_f64_e32 v[12:13], v[104:105], v[40:41]
	;; [unrolled: 1-line block ×3, first 2 shown]
	s_wait_loadcnt 0x3
	v_mul_f64_e32 v[18:19], v[88:89], v[50:51]
	v_mul_f64_e32 v[20:21], v[88:89], v[48:49]
	s_wait_loadcnt 0x2
	v_mul_f64_e32 v[22:23], v[26:27], v[54:55]
	v_mul_f64_e32 v[26:27], v[26:27], v[52:53]
	;; [unrolled: 3-line block ×3, first 2 shown]
	v_fma_f64 v[0:1], v[90:91], v[36:37], v[6:7]
	v_fma_f64 v[2:3], v[90:91], v[38:39], -v[8:9]
	v_fma_f64 v[38:39], v[32:33], v[68:69], v[82:83]
	v_fma_f64 v[8:9], v[98:99], v[44:45], v[14:15]
	;; [unrolled: 1-line block ×3, first 2 shown]
	v_fma_f64 v[6:7], v[102:103], v[42:43], -v[12:13]
	v_fma_f64 v[10:11], v[98:99], v[46:47], -v[16:17]
	v_fma_f64 v[12:13], v[86:87], v[48:49], v[18:19]
	v_fma_f64 v[14:15], v[86:87], v[50:51], -v[20:21]
	v_fma_f64 v[16:17], v[24:25], v[52:53], v[22:23]
	v_fma_f64 v[18:19], v[24:25], v[54:55], -v[26:27]
	v_add_co_u32 v40, vcc_lo, v84, s0
	s_wait_alu 0xfffd
	v_add_co_ci_u32_e32 v41, vcc_lo, s1, v85, vcc_lo
	v_fma_f64 v[36:37], v[28:29], v[64:65], v[80:81]
	v_fma_f64 v[30:31], v[28:29], v[66:67], -v[30:31]
	v_add_co_u32 v42, vcc_lo, v40, s0
	s_wait_alu 0xfffd
	v_add_co_ci_u32_e32 v43, vcc_lo, s1, v41, vcc_lo
	s_delay_alu instid0(VALU_DEP_1) | instskip(NEXT) | instid1(VALU_DEP_1)
	v_mad_co_u64_u32 v[44:45], null, 0xffffcc70, s4, v[42:43]
	v_add_nc_u32_e32 v45, s5, v45
	v_mul_f64_e32 v[0:1], s[2:3], v[0:1]
	v_mul_f64_e32 v[2:3], s[2:3], v[2:3]
	;; [unrolled: 1-line block ×13, first 2 shown]
	v_add_co_u32 v36, vcc_lo, v44, s0
	s_wait_alu 0xfffd
	v_add_co_ci_u32_e32 v37, vcc_lo, s1, v45, vcc_lo
	s_delay_alu instid0(VALU_DEP_2) | instskip(SKIP_1) | instid1(VALU_DEP_2)
	v_add_co_u32 v38, vcc_lo, v36, s0
	s_wait_alu 0xfffd
	v_add_co_ci_u32_e32 v39, vcc_lo, s1, v37, vcc_lo
	s_delay_alu instid0(VALU_DEP_1) | instskip(NEXT) | instid1(VALU_DEP_1)
	v_mad_co_u64_u32 v[46:47], null, 0xffffcc70, s4, v[38:39]
	v_add_nc_u32_e32 v47, s5, v47
	s_delay_alu instid0(VALU_DEP_2) | instskip(SKIP_1) | instid1(VALU_DEP_2)
	v_add_co_u32 v48, vcc_lo, v46, s0
	s_wait_alu 0xfffd
	v_add_co_ci_u32_e32 v49, vcc_lo, s1, v47, vcc_lo
	s_delay_alu instid0(VALU_DEP_2) | instskip(SKIP_1) | instid1(VALU_DEP_2)
	v_add_co_u32 v50, vcc_lo, v48, s0
	s_wait_alu 0xfffd
	v_add_co_ci_u32_e32 v51, vcc_lo, s1, v49, vcc_lo
	s_wait_loadcnt 0x0
	v_mul_f64_e32 v[72:73], v[94:95], v[58:59]
	v_mul_f64_e32 v[74:75], v[94:95], v[56:57]
	scratch_load_b128 v[94:97], off, off offset:64 th:TH_LOAD_LU ; 16-byte Folded Reload
	v_fma_f64 v[20:21], v[92:93], v[56:57], v[72:73]
	v_fma_f64 v[22:23], v[92:93], v[58:59], -v[74:75]
	s_delay_alu instid0(VALU_DEP_2) | instskip(NEXT) | instid1(VALU_DEP_2)
	v_mul_f64_e32 v[20:21], s[2:3], v[20:21]
	v_mul_f64_e32 v[22:23], s[2:3], v[22:23]
	s_wait_loadcnt 0x0
	v_mul_f64_e32 v[76:77], v[96:97], v[62:63]
	v_mul_f64_e32 v[78:79], v[96:97], v[60:61]
	s_delay_alu instid0(VALU_DEP_2) | instskip(NEXT) | instid1(VALU_DEP_2)
	v_fma_f64 v[24:25], v[94:95], v[60:61], v[76:77]
	v_fma_f64 v[26:27], v[94:95], v[62:63], -v[78:79]
	s_delay_alu instid0(VALU_DEP_2) | instskip(NEXT) | instid1(VALU_DEP_2)
	v_mul_f64_e32 v[24:25], s[2:3], v[24:25]
	v_mul_f64_e32 v[26:27], s[2:3], v[26:27]
	s_clause 0x4
	global_store_b128 v[84:85], v[0:3], off
	global_store_b128 v[40:41], v[4:7], off
	;; [unrolled: 1-line block ×9, first 2 shown]
.LBB0_18:
	s_nop 0
	s_sendmsg sendmsg(MSG_DEALLOC_VGPRS)
	s_endpgm
	.section	.rodata,"a",@progbits
	.p2align	6, 0x0
	.amdhsa_kernel bluestein_single_fwd_len1485_dim1_dp_op_CI_CI
		.amdhsa_group_segment_fixed_size 23760
		.amdhsa_private_segment_fixed_size 132
		.amdhsa_kernarg_size 104
		.amdhsa_user_sgpr_count 2
		.amdhsa_user_sgpr_dispatch_ptr 0
		.amdhsa_user_sgpr_queue_ptr 0
		.amdhsa_user_sgpr_kernarg_segment_ptr 1
		.amdhsa_user_sgpr_dispatch_id 0
		.amdhsa_user_sgpr_private_segment_size 0
		.amdhsa_wavefront_size32 1
		.amdhsa_uses_dynamic_stack 0
		.amdhsa_enable_private_segment 1
		.amdhsa_system_sgpr_workgroup_id_x 1
		.amdhsa_system_sgpr_workgroup_id_y 0
		.amdhsa_system_sgpr_workgroup_id_z 0
		.amdhsa_system_sgpr_workgroup_info 0
		.amdhsa_system_vgpr_workitem_id 0
		.amdhsa_next_free_vgpr 256
		.amdhsa_next_free_sgpr 44
		.amdhsa_reserve_vcc 1
		.amdhsa_float_round_mode_32 0
		.amdhsa_float_round_mode_16_64 0
		.amdhsa_float_denorm_mode_32 3
		.amdhsa_float_denorm_mode_16_64 3
		.amdhsa_fp16_overflow 0
		.amdhsa_workgroup_processor_mode 1
		.amdhsa_memory_ordered 1
		.amdhsa_forward_progress 0
		.amdhsa_round_robin_scheduling 0
		.amdhsa_exception_fp_ieee_invalid_op 0
		.amdhsa_exception_fp_denorm_src 0
		.amdhsa_exception_fp_ieee_div_zero 0
		.amdhsa_exception_fp_ieee_overflow 0
		.amdhsa_exception_fp_ieee_underflow 0
		.amdhsa_exception_fp_ieee_inexact 0
		.amdhsa_exception_int_div_zero 0
	.end_amdhsa_kernel
	.text
.Lfunc_end0:
	.size	bluestein_single_fwd_len1485_dim1_dp_op_CI_CI, .Lfunc_end0-bluestein_single_fwd_len1485_dim1_dp_op_CI_CI
                                        ; -- End function
	.section	.AMDGPU.csdata,"",@progbits
; Kernel info:
; codeLenInByte = 15296
; NumSgprs: 46
; NumVgprs: 256
; ScratchSize: 132
; MemoryBound: 0
; FloatMode: 240
; IeeeMode: 1
; LDSByteSize: 23760 bytes/workgroup (compile time only)
; SGPRBlocks: 5
; VGPRBlocks: 31
; NumSGPRsForWavesPerEU: 46
; NumVGPRsForWavesPerEU: 256
; Occupancy: 5
; WaveLimiterHint : 1
; COMPUTE_PGM_RSRC2:SCRATCH_EN: 1
; COMPUTE_PGM_RSRC2:USER_SGPR: 2
; COMPUTE_PGM_RSRC2:TRAP_HANDLER: 0
; COMPUTE_PGM_RSRC2:TGID_X_EN: 1
; COMPUTE_PGM_RSRC2:TGID_Y_EN: 0
; COMPUTE_PGM_RSRC2:TGID_Z_EN: 0
; COMPUTE_PGM_RSRC2:TIDIG_COMP_CNT: 0
	.text
	.p2alignl 7, 3214868480
	.fill 96, 4, 3214868480
	.type	__hip_cuid_57c4ea94f36f4343,@object ; @__hip_cuid_57c4ea94f36f4343
	.section	.bss,"aw",@nobits
	.globl	__hip_cuid_57c4ea94f36f4343
__hip_cuid_57c4ea94f36f4343:
	.byte	0                               ; 0x0
	.size	__hip_cuid_57c4ea94f36f4343, 1

	.ident	"AMD clang version 19.0.0git (https://github.com/RadeonOpenCompute/llvm-project roc-6.4.0 25133 c7fe45cf4b819c5991fe208aaa96edf142730f1d)"
	.section	".note.GNU-stack","",@progbits
	.addrsig
	.addrsig_sym __hip_cuid_57c4ea94f36f4343
	.amdgpu_metadata
---
amdhsa.kernels:
  - .args:
      - .actual_access:  read_only
        .address_space:  global
        .offset:         0
        .size:           8
        .value_kind:     global_buffer
      - .actual_access:  read_only
        .address_space:  global
        .offset:         8
        .size:           8
        .value_kind:     global_buffer
      - .actual_access:  read_only
        .address_space:  global
        .offset:         16
        .size:           8
        .value_kind:     global_buffer
      - .actual_access:  read_only
        .address_space:  global
        .offset:         24
        .size:           8
        .value_kind:     global_buffer
      - .actual_access:  read_only
        .address_space:  global
        .offset:         32
        .size:           8
        .value_kind:     global_buffer
      - .offset:         40
        .size:           8
        .value_kind:     by_value
      - .address_space:  global
        .offset:         48
        .size:           8
        .value_kind:     global_buffer
      - .address_space:  global
        .offset:         56
        .size:           8
        .value_kind:     global_buffer
      - .address_space:  global
        .offset:         64
        .size:           8
        .value_kind:     global_buffer
      - .address_space:  global
        .offset:         72
        .size:           8
        .value_kind:     global_buffer
      - .offset:         80
        .size:           4
        .value_kind:     by_value
      - .address_space:  global
        .offset:         88
        .size:           8
        .value_kind:     global_buffer
      - .address_space:  global
        .offset:         96
        .size:           8
        .value_kind:     global_buffer
    .group_segment_fixed_size: 23760
    .kernarg_segment_align: 8
    .kernarg_segment_size: 104
    .language:       OpenCL C
    .language_version:
      - 2
      - 0
    .max_flat_workgroup_size: 165
    .name:           bluestein_single_fwd_len1485_dim1_dp_op_CI_CI
    .private_segment_fixed_size: 132
    .sgpr_count:     46
    .sgpr_spill_count: 0
    .symbol:         bluestein_single_fwd_len1485_dim1_dp_op_CI_CI.kd
    .uniform_work_group_size: 1
    .uses_dynamic_stack: false
    .vgpr_count:     256
    .vgpr_spill_count: 32
    .wavefront_size: 32
    .workgroup_processor_mode: 1
amdhsa.target:   amdgcn-amd-amdhsa--gfx1201
amdhsa.version:
  - 1
  - 2
...

	.end_amdgpu_metadata
